;; amdgpu-corpus repo=ROCm/rocFFT kind=compiled arch=gfx906 opt=O3
	.text
	.amdgcn_target "amdgcn-amd-amdhsa--gfx906"
	.amdhsa_code_object_version 6
	.protected	fft_rtc_fwd_len1890_factors_2_3_3_3_7_5_wgs_126_tpt_126_halfLds_sp_op_CI_CI_sbrr_dirReg ; -- Begin function fft_rtc_fwd_len1890_factors_2_3_3_3_7_5_wgs_126_tpt_126_halfLds_sp_op_CI_CI_sbrr_dirReg
	.globl	fft_rtc_fwd_len1890_factors_2_3_3_3_7_5_wgs_126_tpt_126_halfLds_sp_op_CI_CI_sbrr_dirReg
	.p2align	8
	.type	fft_rtc_fwd_len1890_factors_2_3_3_3_7_5_wgs_126_tpt_126_halfLds_sp_op_CI_CI_sbrr_dirReg,@function
fft_rtc_fwd_len1890_factors_2_3_3_3_7_5_wgs_126_tpt_126_halfLds_sp_op_CI_CI_sbrr_dirReg: ; @fft_rtc_fwd_len1890_factors_2_3_3_3_7_5_wgs_126_tpt_126_halfLds_sp_op_CI_CI_sbrr_dirReg
; %bb.0:
	s_load_dwordx4 s[16:19], s[4:5], 0x18
	s_load_dwordx4 s[12:15], s[4:5], 0x0
	;; [unrolled: 1-line block ×3, first 2 shown]
	v_mul_u32_u24_e32 v1, 0x209, v0
	v_mov_b32_e32 v7, 0
	s_waitcnt lgkmcnt(0)
	s_load_dwordx2 s[20:21], s[16:17], 0x0
	s_load_dwordx2 s[2:3], s[18:19], 0x0
	v_cmp_lt_u64_e64 s[0:1], s[14:15], 2
	v_mov_b32_e32 v5, 0
	v_add_u32_sdwa v9, s6, v1 dst_sel:DWORD dst_unused:UNUSED_PAD src0_sel:DWORD src1_sel:WORD_1
	v_mov_b32_e32 v10, v7
	s_and_b64 vcc, exec, s[0:1]
	v_mov_b32_e32 v6, 0
	s_cbranch_vccnz .LBB0_8
; %bb.1:
	s_load_dwordx2 s[0:1], s[4:5], 0x10
	s_add_u32 s6, s18, 8
	s_addc_u32 s7, s19, 0
	s_add_u32 s22, s16, 8
	s_addc_u32 s23, s17, 0
	v_mov_b32_e32 v5, 0
	s_waitcnt lgkmcnt(0)
	s_add_u32 s24, s0, 8
	v_mov_b32_e32 v6, 0
	v_mov_b32_e32 v1, v5
	s_addc_u32 s25, s1, 0
	s_mov_b64 s[26:27], 1
	v_mov_b32_e32 v2, v6
.LBB0_2:                                ; =>This Inner Loop Header: Depth=1
	s_load_dwordx2 s[28:29], s[24:25], 0x0
                                        ; implicit-def: $vgpr3_vgpr4
	s_waitcnt lgkmcnt(0)
	v_or_b32_e32 v8, s29, v10
	v_cmp_ne_u64_e32 vcc, 0, v[7:8]
	s_and_saveexec_b64 s[0:1], vcc
	s_xor_b64 s[30:31], exec, s[0:1]
	s_cbranch_execz .LBB0_4
; %bb.3:                                ;   in Loop: Header=BB0_2 Depth=1
	v_cvt_f32_u32_e32 v3, s28
	v_cvt_f32_u32_e32 v4, s29
	s_sub_u32 s0, 0, s28
	s_subb_u32 s1, 0, s29
	v_mac_f32_e32 v3, 0x4f800000, v4
	v_rcp_f32_e32 v3, v3
	v_mul_f32_e32 v3, 0x5f7ffffc, v3
	v_mul_f32_e32 v4, 0x2f800000, v3
	v_trunc_f32_e32 v4, v4
	v_mac_f32_e32 v3, 0xcf800000, v4
	v_cvt_u32_f32_e32 v4, v4
	v_cvt_u32_f32_e32 v3, v3
	v_mul_lo_u32 v8, s0, v4
	v_mul_hi_u32 v11, s0, v3
	v_mul_lo_u32 v13, s1, v3
	v_mul_lo_u32 v12, s0, v3
	v_add_u32_e32 v8, v11, v8
	v_add_u32_e32 v8, v8, v13
	v_mul_hi_u32 v11, v3, v12
	v_mul_lo_u32 v13, v3, v8
	v_mul_hi_u32 v15, v3, v8
	v_mul_hi_u32 v14, v4, v12
	v_mul_lo_u32 v12, v4, v12
	v_mul_hi_u32 v16, v4, v8
	v_add_co_u32_e32 v11, vcc, v11, v13
	v_addc_co_u32_e32 v13, vcc, 0, v15, vcc
	v_mul_lo_u32 v8, v4, v8
	v_add_co_u32_e32 v11, vcc, v11, v12
	v_addc_co_u32_e32 v11, vcc, v13, v14, vcc
	v_addc_co_u32_e32 v12, vcc, 0, v16, vcc
	v_add_co_u32_e32 v8, vcc, v11, v8
	v_addc_co_u32_e32 v11, vcc, 0, v12, vcc
	v_add_co_u32_e32 v3, vcc, v3, v8
	v_addc_co_u32_e32 v4, vcc, v4, v11, vcc
	v_mul_lo_u32 v8, s0, v4
	v_mul_hi_u32 v11, s0, v3
	v_mul_lo_u32 v12, s1, v3
	v_mul_lo_u32 v13, s0, v3
	v_add_u32_e32 v8, v11, v8
	v_add_u32_e32 v8, v8, v12
	v_mul_lo_u32 v14, v3, v8
	v_mul_hi_u32 v15, v3, v13
	v_mul_hi_u32 v16, v3, v8
	;; [unrolled: 1-line block ×3, first 2 shown]
	v_mul_lo_u32 v13, v4, v13
	v_mul_hi_u32 v11, v4, v8
	v_add_co_u32_e32 v14, vcc, v15, v14
	v_addc_co_u32_e32 v15, vcc, 0, v16, vcc
	v_mul_lo_u32 v8, v4, v8
	v_add_co_u32_e32 v13, vcc, v14, v13
	v_addc_co_u32_e32 v12, vcc, v15, v12, vcc
	v_addc_co_u32_e32 v11, vcc, 0, v11, vcc
	v_add_co_u32_e32 v8, vcc, v12, v8
	v_addc_co_u32_e32 v11, vcc, 0, v11, vcc
	v_add_co_u32_e32 v8, vcc, v3, v8
	v_addc_co_u32_e32 v11, vcc, v4, v11, vcc
	v_mad_u64_u32 v[3:4], s[0:1], v9, v11, 0
	v_mul_hi_u32 v12, v9, v8
	v_add_co_u32_e32 v13, vcc, v12, v3
	v_addc_co_u32_e32 v14, vcc, 0, v4, vcc
	v_mad_u64_u32 v[3:4], s[0:1], v10, v8, 0
	v_mad_u64_u32 v[11:12], s[0:1], v10, v11, 0
	v_add_co_u32_e32 v3, vcc, v13, v3
	v_addc_co_u32_e32 v3, vcc, v14, v4, vcc
	v_addc_co_u32_e32 v4, vcc, 0, v12, vcc
	v_add_co_u32_e32 v8, vcc, v3, v11
	v_addc_co_u32_e32 v11, vcc, 0, v4, vcc
	v_mul_lo_u32 v12, s29, v8
	v_mul_lo_u32 v13, s28, v11
	v_mad_u64_u32 v[3:4], s[0:1], s28, v8, 0
	v_add3_u32 v4, v4, v13, v12
	v_sub_u32_e32 v12, v10, v4
	v_mov_b32_e32 v13, s29
	v_sub_co_u32_e32 v3, vcc, v9, v3
	v_subb_co_u32_e64 v12, s[0:1], v12, v13, vcc
	v_subrev_co_u32_e64 v13, s[0:1], s28, v3
	v_subbrev_co_u32_e64 v12, s[0:1], 0, v12, s[0:1]
	v_cmp_le_u32_e64 s[0:1], s29, v12
	v_cndmask_b32_e64 v14, 0, -1, s[0:1]
	v_cmp_le_u32_e64 s[0:1], s28, v13
	v_cndmask_b32_e64 v13, 0, -1, s[0:1]
	v_cmp_eq_u32_e64 s[0:1], s29, v12
	v_cndmask_b32_e64 v12, v14, v13, s[0:1]
	v_add_co_u32_e64 v13, s[0:1], 2, v8
	v_addc_co_u32_e64 v14, s[0:1], 0, v11, s[0:1]
	v_add_co_u32_e64 v15, s[0:1], 1, v8
	v_addc_co_u32_e64 v16, s[0:1], 0, v11, s[0:1]
	v_subb_co_u32_e32 v4, vcc, v10, v4, vcc
	v_cmp_ne_u32_e64 s[0:1], 0, v12
	v_cmp_le_u32_e32 vcc, s29, v4
	v_cndmask_b32_e64 v12, v16, v14, s[0:1]
	v_cndmask_b32_e64 v14, 0, -1, vcc
	v_cmp_le_u32_e32 vcc, s28, v3
	v_cndmask_b32_e64 v3, 0, -1, vcc
	v_cmp_eq_u32_e32 vcc, s29, v4
	v_cndmask_b32_e32 v3, v14, v3, vcc
	v_cmp_ne_u32_e32 vcc, 0, v3
	v_cndmask_b32_e64 v3, v15, v13, s[0:1]
	v_cndmask_b32_e32 v4, v11, v12, vcc
	v_cndmask_b32_e32 v3, v8, v3, vcc
.LBB0_4:                                ;   in Loop: Header=BB0_2 Depth=1
	s_andn2_saveexec_b64 s[0:1], s[30:31]
	s_cbranch_execz .LBB0_6
; %bb.5:                                ;   in Loop: Header=BB0_2 Depth=1
	v_cvt_f32_u32_e32 v3, s28
	s_sub_i32 s30, 0, s28
	v_rcp_iflag_f32_e32 v3, v3
	v_mul_f32_e32 v3, 0x4f7ffffe, v3
	v_cvt_u32_f32_e32 v3, v3
	v_mul_lo_u32 v4, s30, v3
	v_mul_hi_u32 v4, v3, v4
	v_add_u32_e32 v3, v3, v4
	v_mul_hi_u32 v3, v9, v3
	v_mul_lo_u32 v4, v3, s28
	v_add_u32_e32 v8, 1, v3
	v_sub_u32_e32 v4, v9, v4
	v_subrev_u32_e32 v11, s28, v4
	v_cmp_le_u32_e32 vcc, s28, v4
	v_cndmask_b32_e32 v4, v4, v11, vcc
	v_cndmask_b32_e32 v3, v3, v8, vcc
	v_add_u32_e32 v8, 1, v3
	v_cmp_le_u32_e32 vcc, s28, v4
	v_cndmask_b32_e32 v3, v3, v8, vcc
	v_mov_b32_e32 v4, v7
.LBB0_6:                                ;   in Loop: Header=BB0_2 Depth=1
	s_or_b64 exec, exec, s[0:1]
	v_mul_lo_u32 v8, v4, s28
	v_mul_lo_u32 v13, v3, s29
	v_mad_u64_u32 v[11:12], s[0:1], v3, s28, 0
	s_load_dwordx2 s[0:1], s[22:23], 0x0
	s_load_dwordx2 s[28:29], s[6:7], 0x0
	v_add3_u32 v8, v12, v13, v8
	v_sub_co_u32_e32 v9, vcc, v9, v11
	v_subb_co_u32_e32 v8, vcc, v10, v8, vcc
	s_waitcnt lgkmcnt(0)
	v_mul_lo_u32 v10, s0, v8
	v_mul_lo_u32 v11, s1, v9
	v_mad_u64_u32 v[5:6], s[0:1], s0, v9, v[5:6]
	v_mul_lo_u32 v8, s28, v8
	v_mul_lo_u32 v12, s29, v9
	v_mad_u64_u32 v[1:2], s[0:1], s28, v9, v[1:2]
	s_add_u32 s26, s26, 1
	s_addc_u32 s27, s27, 0
	s_add_u32 s6, s6, 8
	v_add3_u32 v2, v12, v2, v8
	s_addc_u32 s7, s7, 0
	v_mov_b32_e32 v8, s14
	s_add_u32 s22, s22, 8
	v_mov_b32_e32 v9, s15
	s_addc_u32 s23, s23, 0
	v_cmp_ge_u64_e32 vcc, s[26:27], v[8:9]
	s_add_u32 s24, s24, 8
	v_add3_u32 v6, v11, v6, v10
	s_addc_u32 s25, s25, 0
	s_cbranch_vccnz .LBB0_9
; %bb.7:                                ;   in Loop: Header=BB0_2 Depth=1
	v_mov_b32_e32 v10, v4
	v_mov_b32_e32 v9, v3
	s_branch .LBB0_2
.LBB0_8:
	v_mov_b32_e32 v1, v5
	v_mov_b32_e32 v3, v9
	;; [unrolled: 1-line block ×4, first 2 shown]
.LBB0_9:
	s_load_dwordx2 s[0:1], s[4:5], 0x28
	s_lshl_b64 s[14:15], s[14:15], 3
	s_add_u32 s4, s18, s14
	s_addc_u32 s5, s19, s15
                                        ; implicit-def: $sgpr18
                                        ; implicit-def: $vgpr40
                                        ; implicit-def: $vgpr43
                                        ; implicit-def: $vgpr42
                                        ; implicit-def: $vgpr44
                                        ; implicit-def: $vgpr45
                                        ; implicit-def: $vgpr46
                                        ; implicit-def: $vgpr41
	s_waitcnt lgkmcnt(0)
	v_cmp_gt_u64_e32 vcc, s[0:1], v[3:4]
	v_cmp_le_u64_e64 s[0:1], s[0:1], v[3:4]
	s_and_saveexec_b64 s[6:7], s[0:1]
	s_xor_b64 s[0:1], exec, s[6:7]
; %bb.10:
	s_mov_b32 s6, 0x2082083
	v_mul_hi_u32 v5, v0, s6
	s_mov_b32 s18, 0
	v_mul_u32_u24_e32 v5, 0x7e, v5
	v_sub_u32_e32 v40, v0, v5
	v_add_u32_e32 v43, 0x7e, v40
	v_add_u32_e32 v42, 0xfc, v40
	v_add_u32_e32 v44, 0x17a, v40
	v_add_u32_e32 v45, 0x1f8, v40
	v_add_u32_e32 v46, 0x276, v40
	v_add_u32_e32 v41, 0x2f4, v40
                                        ; implicit-def: $vgpr0
                                        ; implicit-def: $vgpr5_vgpr6
; %bb.11:
	s_or_saveexec_b64 s[6:7], s[0:1]
	s_load_dwordx2 s[4:5], s[4:5], 0x0
	v_mov_b32_e32 v9, s18
	v_mov_b32_e32 v8, s18
                                        ; implicit-def: $vgpr11
                                        ; implicit-def: $vgpr13
                                        ; implicit-def: $vgpr15
                                        ; implicit-def: $vgpr17
                                        ; implicit-def: $vgpr19
                                        ; implicit-def: $vgpr21
                                        ; implicit-def: $vgpr23
                                        ; implicit-def: $vgpr25
                                        ; implicit-def: $vgpr27
                                        ; implicit-def: $vgpr29
                                        ; implicit-def: $vgpr31
                                        ; implicit-def: $vgpr39
                                        ; implicit-def: $vgpr37
                                        ; implicit-def: $vgpr33
                                        ; implicit-def: $vgpr35
	s_xor_b64 exec, exec, s[6:7]
	s_cbranch_execz .LBB0_15
; %bb.12:
	s_add_u32 s0, s16, s14
	s_mov_b32 s14, 0x2082083
	v_mul_hi_u32 v7, v0, s14
	s_addc_u32 s1, s17, s15
	s_load_dwordx2 s[0:1], s[0:1], 0x0
	v_lshlrev_b64 v[5:6], 3, v[5:6]
	v_mul_u32_u24_e32 v7, 0x7e, v7
	v_sub_u32_e32 v40, v0, v7
	v_mad_u64_u32 v[7:8], s[14:15], s20, v40, 0
	s_waitcnt lgkmcnt(0)
	v_mul_lo_u32 v13, s1, v3
	v_mul_lo_u32 v14, s0, v4
	v_mad_u64_u32 v[9:10], s[0:1], s0, v3, 0
	v_mov_b32_e32 v0, v8
	v_mad_u64_u32 v[11:12], s[0:1], s21, v40, v[0:1]
	v_add3_u32 v10, v10, v14, v13
	v_lshlrev_b64 v[9:10], 3, v[9:10]
	v_mov_b32_e32 v8, v11
	v_mov_b32_e32 v0, s9
	v_add_co_u32_e64 v11, s[0:1], s8, v9
	v_add_u32_e32 v13, 0x3b1, v40
	v_addc_co_u32_e64 v12, s[0:1], v0, v10, s[0:1]
	v_mad_u64_u32 v[9:10], s[0:1], s20, v13, 0
	v_add_co_u32_e64 v0, s[0:1], v11, v5
	v_addc_co_u32_e64 v5, s[0:1], v12, v6, s[0:1]
	v_lshlrev_b64 v[6:7], 3, v[7:8]
	v_mov_b32_e32 v8, v10
	v_mad_u64_u32 v[10:11], s[0:1], s21, v13, v[8:9]
	v_add_u32_e32 v43, 0x7e, v40
	v_mad_u64_u32 v[11:12], s[0:1], s20, v43, 0
	v_add_co_u32_e64 v6, s[0:1], v0, v6
	v_lshlrev_b64 v[8:9], 3, v[9:10]
	v_mov_b32_e32 v10, v12
	v_addc_co_u32_e64 v7, s[0:1], v5, v7, s[0:1]
	v_mad_u64_u32 v[12:13], s[0:1], s21, v43, v[10:11]
	v_add_u32_e32 v15, 0x42f, v40
	v_mad_u64_u32 v[13:14], s[0:1], s20, v15, 0
	v_add_co_u32_e64 v8, s[0:1], v0, v8
	v_lshlrev_b64 v[10:11], 3, v[11:12]
	v_mov_b32_e32 v12, v14
	v_addc_co_u32_e64 v9, s[0:1], v5, v9, s[0:1]
	v_mad_u64_u32 v[14:15], s[0:1], s21, v15, v[12:13]
	v_add_u32_e32 v42, 0xfc, v40
	v_mad_u64_u32 v[15:16], s[0:1], s20, v42, 0
	v_add_co_u32_e64 v38, s[0:1], v0, v10
	v_mov_b32_e32 v12, v16
	v_addc_co_u32_e64 v39, s[0:1], v5, v11, s[0:1]
	v_lshlrev_b64 v[10:11], 3, v[13:14]
	v_mad_u64_u32 v[12:13], s[0:1], s21, v42, v[12:13]
	v_add_u32_e32 v17, 0x4ad, v40
	v_mad_u64_u32 v[13:14], s[0:1], s20, v17, 0
	v_add_co_u32_e64 v47, s[0:1], v0, v10
	v_mov_b32_e32 v16, v12
	v_mov_b32_e32 v12, v14
	v_addc_co_u32_e64 v48, s[0:1], v5, v11, s[0:1]
	v_lshlrev_b64 v[10:11], 3, v[15:16]
	v_mad_u64_u32 v[14:15], s[0:1], s21, v17, v[12:13]
	v_add_u32_e32 v44, 0x17a, v40
	v_mad_u64_u32 v[15:16], s[0:1], s20, v44, 0
	v_add_co_u32_e64 v49, s[0:1], v0, v10
	v_mov_b32_e32 v12, v16
	v_addc_co_u32_e64 v50, s[0:1], v5, v11, s[0:1]
	v_lshlrev_b64 v[10:11], 3, v[13:14]
	v_mad_u64_u32 v[12:13], s[0:1], s21, v44, v[12:13]
	v_add_u32_e32 v17, 0x52b, v40
	v_mad_u64_u32 v[13:14], s[0:1], s20, v17, 0
	v_add_co_u32_e64 v51, s[0:1], v0, v10
	v_mov_b32_e32 v16, v12
	v_mov_b32_e32 v12, v14
	v_addc_co_u32_e64 v52, s[0:1], v5, v11, s[0:1]
	v_lshlrev_b64 v[10:11], 3, v[15:16]
	;; [unrolled: 15-line block ×5, first 2 shown]
	v_mad_u64_u32 v[14:15], s[0:1], s21, v17, v[12:13]
	v_add_co_u32_e64 v65, s[0:1], v0, v10
	v_addc_co_u32_e64 v66, s[0:1], v5, v11, s[0:1]
	v_lshlrev_b64 v[10:11], 3, v[13:14]
	v_add_co_u32_e64 v67, s[0:1], v0, v10
	v_addc_co_u32_e64 v68, s[0:1], v5, v11, s[0:1]
	global_load_dwordx2 v[10:11], v[6:7], off
	global_load_dwordx2 v[12:13], v[8:9], off
	;; [unrolled: 1-line block ×14, first 2 shown]
	v_cmp_gt_u32_e64 s[0:1], 63, v40
	v_mov_b32_e32 v8, 0
	v_mov_b32_e32 v9, 0
                                        ; implicit-def: $vgpr38
	s_and_saveexec_b64 s[8:9], s[0:1]
	s_cbranch_execz .LBB0_14
; %bb.13:
	v_add_u32_e32 v38, 0x372, v40
	v_add_u32_e32 v47, 0x723, v40
	v_mad_u64_u32 v[6:7], s[0:1], s20, v38, 0
	v_mad_u64_u32 v[8:9], s[0:1], s20, v47, 0
	;; [unrolled: 1-line block ×3, first 2 shown]
	v_mov_b32_e32 v7, v38
	s_waitcnt vmcnt(13)
	v_mad_u64_u32 v[38:39], s[0:1], s21, v47, v[9:10]
	v_lshlrev_b64 v[6:7], 3, v[6:7]
	v_mov_b32_e32 v9, v38
	v_add_co_u32_e64 v6, s[0:1], v0, v6
	v_lshlrev_b64 v[8:9], 3, v[8:9]
	v_addc_co_u32_e64 v7, s[0:1], v5, v7, s[0:1]
	v_add_co_u32_e64 v47, s[0:1], v0, v8
	v_addc_co_u32_e64 v48, s[0:1], v5, v9, s[0:1]
	global_load_dwordx2 v[8:9], v[6:7], off
	global_load_dwordx2 v[38:39], v[47:48], off
.LBB0_14:
	s_or_b64 exec, exec, s[8:9]
.LBB0_15:
	s_or_b64 exec, exec, s[6:7]
	s_waitcnt vmcnt(12)
	v_sub_f32_e32 v6, v10, v12
	s_waitcnt vmcnt(10)
	v_sub_f32_e32 v50, v14, v34
	v_fma_f32 v5, v10, 2.0, -v6
	v_fma_f32 v49, v14, 2.0, -v50
	s_waitcnt vmcnt(8)
	v_sub_f32_e32 v52, v16, v32
	s_waitcnt vmcnt(6)
	v_sub_f32_e32 v54, v18, v20
	;; [unrolled: 2-line block ×5, first 2 shown]
	v_lshl_add_u32 v48, v40, 3, 0
	v_lshl_add_u32 v32, v43, 3, 0
	v_add_u32_e32 v0, 0x372, v40
	v_fma_f32 v51, v16, 2.0, -v52
	v_fma_f32 v53, v18, 2.0, -v54
	;; [unrolled: 1-line block ×5, first 2 shown]
	v_sub_f32_e32 v7, v8, v38
	ds_write_b64 v48, v[5:6]
	ds_write_b64 v32, v[49:50]
	v_lshl_add_u32 v34, v42, 3, 0
	v_lshl_add_u32 v36, v44, 3, 0
	;; [unrolled: 1-line block ×5, first 2 shown]
	v_cmp_gt_u32_e64 s[0:1], 63, v40
	v_lshl_add_u32 v47, v0, 3, 0
	ds_write_b64 v34, v[51:52]
	ds_write_b64 v36, v[53:54]
	;; [unrolled: 1-line block ×5, first 2 shown]
	s_and_saveexec_b64 s[6:7], s[0:1]
	s_cbranch_execz .LBB0_17
; %bb.16:
	v_fma_f32 v6, v8, 2.0, -v7
	ds_write_b64 v47, v[6:7]
.LBB0_17:
	s_or_b64 exec, exec, s[6:7]
	v_sub_f32_e32 v59, v23, v25
	v_lshlrev_b32_e32 v5, 2, v40
	v_lshlrev_b32_e32 v6, 2, v46
	v_sub_f32_e32 v57, v19, v21
	v_fma_f32 v58, v23, 2.0, -v59
	v_sub_f32_e32 v61, v27, v29
	v_sub_f32_e32 v63, v31, v37
	v_sub_u32_e32 v0, v48, v5
	v_sub_u32_e32 v23, 0, v6
	;; [unrolled: 1-line block ×3, first 2 shown]
	v_lshlrev_b32_e32 v8, 2, v43
	v_lshlrev_b32_e32 v6, 2, v42
	;; [unrolled: 1-line block ×4, first 2 shown]
	v_sub_f32_e32 v51, v11, v13
	v_sub_f32_e32 v53, v15, v35
	;; [unrolled: 1-line block ×3, first 2 shown]
	v_fma_f32 v56, v19, 2.0, -v57
	v_fma_f32 v60, v27, 2.0, -v61
	;; [unrolled: 1-line block ×3, first 2 shown]
	v_add_u32_e32 v21, 0x1200, v0
	v_sub_u32_e32 v29, v32, v8
	v_add_u32_e32 v22, 0xa00, v0
	v_sub_u32_e32 v26, v34, v6
	;; [unrolled: 2-line block ×4, first 2 shown]
	v_fma_f32 v50, v11, 2.0, -v51
	v_fma_f32 v52, v15, 2.0, -v53
	;; [unrolled: 1-line block ×3, first 2 shown]
	s_waitcnt lgkmcnt(0)
	s_barrier
	ds_read_b32 v25, v0
	ds_read2_b32 v[11:12], v21 offset0:108 offset1:234
	ds_read2_b32 v[13:14], v22 offset0:116 offset1:242
	;; [unrolled: 1-line block ×4, first 2 shown]
	ds_read_b32 v28, v26
	ds_read_b32 v27, v27
	;; [unrolled: 1-line block ×5, first 2 shown]
	ds_read_b32 v30, v0 offset:7056
	v_sub_f32_e32 v10, v9, v39
	v_sub_u32_e32 v33, 0, v8
	v_sub_u32_e32 v35, 0, v6
	;; [unrolled: 1-line block ×4, first 2 shown]
	s_waitcnt lgkmcnt(0)
	s_barrier
	ds_write_b64 v48, v[50:51]
	ds_write_b64 v32, v[52:53]
	;; [unrolled: 1-line block ×7, first 2 shown]
	s_and_saveexec_b64 s[6:7], s[0:1]
	s_cbranch_execz .LBB0_19
; %bb.18:
	v_fma_f32 v9, v9, 2.0, -v10
	ds_write_b64 v47, v[9:10]
.LBB0_19:
	s_or_b64 exec, exec, s[6:7]
	v_and_b32_e32 v56, 1, v40
	v_lshlrev_b32_e32 v9, 4, v56
	s_waitcnt lgkmcnt(0)
	s_barrier
	global_load_dwordx4 v[46:49], v9, s[12:13]
	v_add_u32_e32 v9, v32, v33
	ds_read2_b32 v[32:33], v22 offset0:116 offset1:242
	ds_read2_b32 v[54:55], v19 offset0:112 offset1:238
	;; [unrolled: 1-line block ×4, first 2 shown]
	v_add_u32_e32 v24, v24, v23
	v_add_u32_e32 v35, v34, v35
	;; [unrolled: 1-line block ×4, first 2 shown]
	ds_read_b32 v39, v0
	ds_read_b32 v34, v0 offset:7056
	ds_read_b32 v37, v24
	ds_read_b32 v57, v9
	;; [unrolled: 1-line block ×5, first 2 shown]
	s_waitcnt vmcnt(0) lgkmcnt(0)
	s_barrier
	s_movk_i32 s0, 0xab
	v_mul_f32_e32 v61, v11, v49
	v_mul_f32_e32 v64, v32, v47
	;; [unrolled: 1-line block ×13, first 2 shown]
	v_fmac_f32_e32 v61, v50, v48
	v_fmac_f32_e32 v47, v37, v46
	v_mul_f32_e32 v63, v12, v49
	v_mul_f32_e32 v68, v52, v49
	;; [unrolled: 1-line block ×7, first 2 shown]
	v_fma_f32 v11, v11, v48, -v38
	v_fma_f32 v12, v12, v48, -v62
	;; [unrolled: 1-line block ×3, first 2 shown]
	v_add_f32_e32 v38, v47, v61
	v_fma_f32 v31, v31, v46, -v76
	v_fmac_f32_e32 v49, v34, v48
	v_sub_f32_e32 v34, v47, v61
	v_add_f32_e32 v37, v39, v47
	v_add_f32_e32 v47, v13, v12
	v_fmac_f32_e32 v39, -0.5, v38
	v_fmac_f32_e32 v63, v51, v48
	v_fma_f32 v14, v14, v46, -v66
	v_fmac_f32_e32 v65, v32, v46
	v_fmac_f32_e32 v67, v33, v46
	v_fma_f32 v17, v17, v46, -v72
	v_fma_f32 v18, v18, v46, -v74
	v_fmac_f32_e32 v73, v54, v46
	v_fmac_f32_e32 v75, v55, v46
	v_add_f32_e32 v32, v25, v31
	v_add_f32_e32 v33, v31, v11
	v_sub_f32_e32 v31, v31, v11
	v_add_f32_e32 v46, v29, v13
	v_fmac_f32_e32 v29, -0.5, v47
	v_mov_b32_e32 v47, v39
	v_fmac_f32_e32 v39, 0x3f5db3d7, v31
	v_fmac_f32_e32 v47, 0xbf5db3d7, v31
	v_add_f32_e32 v31, v65, v63
	v_fma_f32 v15, v15, v48, -v68
	v_add_f32_e32 v50, v57, v65
	v_fmac_f32_e32 v57, -0.5, v31
	v_fmac_f32_e32 v25, -0.5, v33
	v_add_f32_e32 v33, v46, v12
	v_sub_f32_e32 v12, v13, v12
	v_mov_b32_e32 v13, v57
	v_add_f32_e32 v31, v14, v15
	v_fma_f32 v16, v16, v48, -v70
	v_fmac_f32_e32 v69, v52, v48
	v_fmac_f32_e32 v71, v53, v48
	v_fma_f32 v30, v30, v48, -v77
	v_sub_f32_e32 v48, v65, v63
	v_add_f32_e32 v11, v32, v11
	v_add_f32_e32 v32, v37, v61
	v_mov_b32_e32 v37, v25
	v_mov_b32_e32 v38, v29
	v_fmac_f32_e32 v13, 0xbf5db3d7, v12
	v_fmac_f32_e32 v57, 0x3f5db3d7, v12
	v_add_f32_e32 v12, v28, v14
	v_fmac_f32_e32 v28, -0.5, v31
	v_fmac_f32_e32 v25, 0xbf5db3d7, v34
	v_fmac_f32_e32 v29, 0xbf5db3d7, v48
	;; [unrolled: 1-line block ×4, first 2 shown]
	v_sub_f32_e32 v31, v67, v69
	v_mov_b32_e32 v34, v28
	v_add_f32_e32 v48, v67, v69
	v_fmac_f32_e32 v34, 0x3f5db3d7, v31
	v_fmac_f32_e32 v28, 0xbf5db3d7, v31
	v_add_f32_e32 v31, v58, v67
	v_fmac_f32_e32 v58, -0.5, v48
	v_add_f32_e32 v12, v12, v15
	v_sub_f32_e32 v14, v14, v15
	v_mov_b32_e32 v15, v58
	v_add_f32_e32 v48, v17, v16
	v_fmac_f32_e32 v15, 0xbf5db3d7, v14
	v_fmac_f32_e32 v58, 0x3f5db3d7, v14
	v_add_f32_e32 v14, v27, v17
	v_fmac_f32_e32 v27, -0.5, v48
	v_add_f32_e32 v46, v50, v63
	;; [unrolled: 8-line block ×3, first 2 shown]
	v_sub_f32_e32 v16, v17, v16
	v_mov_b32_e32 v17, v59
	v_add_f32_e32 v51, v18, v30
	v_fmac_f32_e32 v17, 0xbf5db3d7, v16
	v_fmac_f32_e32 v59, 0x3f5db3d7, v16
	v_add_f32_e32 v16, v26, v18
	v_fmac_f32_e32 v26, -0.5, v51
	v_sub_f32_e32 v51, v75, v49
	v_mov_b32_e32 v52, v26
	v_fmac_f32_e32 v52, 0x3f5db3d7, v51
	v_fmac_f32_e32 v26, 0xbf5db3d7, v51
	v_add_f32_e32 v51, v60, v75
	v_add_f32_e32 v54, v51, v49
	v_add_f32_e32 v49, v75, v49
	v_fmac_f32_e32 v60, -0.5, v49
	v_add_f32_e32 v16, v16, v30
	v_sub_f32_e32 v18, v18, v30
	v_mov_b32_e32 v30, v60
	v_fmac_f32_e32 v30, 0xbf5db3d7, v18
	v_fmac_f32_e32 v60, 0x3f5db3d7, v18
	v_lshrrev_b32_e32 v18, 1, v40
	v_mul_u32_u24_e32 v18, 6, v18
	v_or_b32_e32 v18, v18, v56
	v_lshrrev_b32_e32 v49, 1, v43
	v_mul_lo_u32 v49, v49, 6
	v_lshl_add_u32 v18, v18, 2, 0
	ds_write2_b32 v18, v11, v37 offset1:2
	ds_write_b32 v18, v25 offset:16
	v_lshrrev_b32_e32 v25, 1, v42
	v_mul_lo_u32 v25, v25, 6
	v_or_b32_e32 v11, v49, v56
	v_lshl_add_u32 v11, v11, 2, 0
	ds_write2_b32 v11, v33, v38 offset1:2
	ds_write_b32 v11, v29 offset:16
	v_or_b32_e32 v25, v25, v56
	v_lshrrev_b32_e32 v29, 1, v44
	v_mul_lo_u32 v29, v29, 6
	v_lshl_add_u32 v25, v25, 2, 0
	ds_write2_b32 v25, v12, v34 offset1:2
	ds_write_b32 v25, v28 offset:16
	v_lshrrev_b32_e32 v28, 1, v45
	v_mul_lo_u32 v28, v28, 6
	v_or_b32_e32 v12, v29, v56
	v_lshl_add_u32 v12, v12, 2, 0
	ds_write2_b32 v12, v14, v50 offset1:2
	ds_write_b32 v12, v27 offset:16
	v_or_b32_e32 v14, v28, v56
	v_lshl_add_u32 v14, v14, 2, 0
	v_add_f32_e32 v31, v31, v69
	v_add_f32_e32 v48, v48, v71
	ds_write2_b32 v14, v16, v52 offset1:2
	ds_write_b32 v14, v26 offset:16
	s_waitcnt lgkmcnt(0)
	s_barrier
	ds_read_b32 v56, v0
	ds_read2_b32 v[33:34], v21 offset0:108 offset1:234
	ds_read2_b32 v[37:38], v22 offset0:116 offset1:242
	ds_read2_b32 v[50:51], v20 offset0:104 offset1:230
	ds_read2_b32 v[52:53], v19 offset0:112 offset1:238
	ds_read_b32 v61, v35
	ds_read_b32 v62, v36
	;; [unrolled: 1-line block ×5, first 2 shown]
	ds_read_b32 v66, v0 offset:7056
	s_waitcnt lgkmcnt(0)
	s_barrier
	ds_write2_b32 v18, v32, v47 offset1:2
	ds_write_b32 v18, v39 offset:16
	ds_write2_b32 v11, v46, v13 offset1:2
	ds_write_b32 v11, v57 offset:16
	;; [unrolled: 2-line block ×5, first 2 shown]
	v_mul_lo_u16_sdwa v11, v40, s0 dst_sel:DWORD dst_unused:UNUSED_PAD src0_sel:BYTE_0 src1_sel:DWORD
	v_lshrrev_b16_e32 v39, 10, v11
	v_mul_lo_u16_e32 v11, 6, v39
	v_sub_u16_e32 v57, v40, v11
	v_mov_b32_e32 v58, 4
	v_lshlrev_b32_sdwa v11, v58, v57 dst_sel:DWORD dst_unused:UNUSED_PAD src0_sel:DWORD src1_sel:BYTE_0
	s_waitcnt lgkmcnt(0)
	s_barrier
	global_load_dwordx4 v[11:14], v11, s[12:13] offset:32
	v_mul_lo_u16_sdwa v15, v43, s0 dst_sel:DWORD dst_unused:UNUSED_PAD src0_sel:BYTE_0 src1_sel:DWORD
	v_lshrrev_b16_e32 v59, 10, v15
	v_mul_lo_u16_e32 v15, 6, v59
	v_sub_u16_e32 v60, v43, v15
	v_lshlrev_b32_sdwa v15, v58, v60 dst_sel:DWORD dst_unused:UNUSED_PAD src0_sel:DWORD src1_sel:BYTE_0
	global_load_dwordx4 v[15:18], v15, s[12:13] offset:32
	s_mov_b32 s0, 0xaaab
	v_mul_u32_u24_sdwa v25, v42, s0 dst_sel:DWORD dst_unused:UNUSED_PAD src0_sel:WORD_0 src1_sel:DWORD
	v_lshrrev_b32_e32 v67, 18, v25
	v_mul_lo_u16_e32 v25, 6, v67
	v_sub_u16_e32 v68, v42, v25
	v_lshlrev_b32_e32 v25, 4, v68
	global_load_dwordx4 v[25:28], v25, s[12:13] offset:32
	v_mul_u32_u24_sdwa v29, v44, s0 dst_sel:DWORD dst_unused:UNUSED_PAD src0_sel:WORD_0 src1_sel:DWORD
	v_lshrrev_b32_e32 v69, 18, v29
	v_mul_lo_u16_e32 v29, 6, v69
	v_mul_u32_u24_sdwa v46, v45, s0 dst_sel:DWORD dst_unused:UNUSED_PAD src0_sel:WORD_0 src1_sel:DWORD
	v_sub_u16_e32 v70, v44, v29
	v_lshrrev_b32_e32 v71, 18, v46
	v_lshlrev_b32_e32 v29, 4, v70
	global_load_dwordx4 v[29:32], v29, s[12:13] offset:32
	v_mul_lo_u16_e32 v46, 6, v71
	v_sub_u16_e32 v72, v45, v46
	v_lshlrev_b32_e32 v46, 4, v72
	global_load_dwordx4 v[46:49], v46, s[12:13] offset:32
	ds_read2_b32 v[54:55], v21 offset0:108 offset1:234
	ds_read_b32 v73, v24
	ds_read_b32 v74, v9
	;; [unrolled: 1-line block ×5, first 2 shown]
	ds_read_b32 v78, v0 offset:7056
	s_mov_b32 s0, 0xe38f
	s_waitcnt vmcnt(4) lgkmcnt(5)
	v_mul_f32_e32 v79, v73, v12
	v_fma_f32 v79, v65, v11, -v79
	v_mul_f32_e32 v65, v65, v12
	v_fmac_f32_e32 v65, v73, v11
	v_mul_f32_e32 v11, v54, v14
	v_fma_f32 v73, v33, v13, -v11
	ds_read2_b32 v[11:12], v22 offset0:116 offset1:242
	v_mul_f32_e32 v33, v33, v14
	v_fmac_f32_e32 v33, v54, v13
	s_waitcnt vmcnt(3)
	v_mul_f32_e32 v13, v55, v18
	v_fma_f32 v54, v34, v17, -v13
	s_waitcnt lgkmcnt(0)
	v_mul_f32_e32 v13, v11, v16
	v_mul_f32_e32 v18, v34, v18
	v_fma_f32 v34, v37, v15, -v13
	ds_read2_b32 v[13:14], v20 offset0:104 offset1:230
	v_mul_f32_e32 v16, v37, v16
	v_fmac_f32_e32 v16, v11, v15
	s_waitcnt vmcnt(2)
	v_mul_f32_e32 v11, v12, v26
	v_fmac_f32_e32 v18, v55, v17
	v_fma_f32 v15, v38, v25, -v11
	v_mul_f32_e32 v17, v38, v26
	s_waitcnt lgkmcnt(0)
	v_mul_f32_e32 v11, v13, v28
	v_fmac_f32_e32 v17, v12, v25
	v_fma_f32 v25, v50, v27, -v11
	ds_read2_b32 v[11:12], v19 offset0:112 offset1:238
	v_mul_f32_e32 v26, v50, v28
	v_fmac_f32_e32 v26, v13, v27
	s_waitcnt vmcnt(1)
	v_mul_f32_e32 v27, v51, v32
	v_mul_f32_e32 v13, v14, v32
	v_fmac_f32_e32 v27, v14, v31
	s_waitcnt lgkmcnt(0)
	v_mul_f32_e32 v14, v11, v30
	v_mul_f32_e32 v28, v52, v30
	v_fma_f32 v14, v52, v29, -v14
	v_fmac_f32_e32 v28, v11, v29
	s_waitcnt vmcnt(0)
	v_mul_f32_e32 v29, v53, v47
	v_mul_f32_e32 v11, v12, v47
	v_fmac_f32_e32 v29, v12, v46
	ds_read_b32 v12, v0
	v_fma_f32 v11, v53, v46, -v11
	v_add_f32_e32 v37, v79, v73
	v_mov_b32_e32 v46, 2
	v_add_f32_e32 v32, v56, v79
	v_fmac_f32_e32 v56, -0.5, v37
	v_mul_u32_u24_e32 v37, 0x48, v39
	v_lshlrev_b32_sdwa v38, v46, v57 dst_sel:DWORD dst_unused:UNUSED_PAD src0_sel:DWORD src1_sel:BYTE_0
	v_add3_u32 v38, 0, v37, v38
	v_sub_f32_e32 v37, v65, v33
	v_mov_b32_e32 v39, v56
	v_add_f32_e32 v32, v32, v73
	v_fmac_f32_e32 v39, 0x3f5db3d7, v37
	s_waitcnt lgkmcnt(0)
	s_barrier
	ds_write2_b32 v38, v32, v39 offset1:6
	v_add_f32_e32 v32, v12, v65
	v_add_f32_e32 v39, v32, v33
	;; [unrolled: 1-line block ×3, first 2 shown]
	v_fmac_f32_e32 v12, -0.5, v32
	v_sub_f32_e32 v32, v79, v73
	v_mov_b32_e32 v47, v12
	v_add_f32_e32 v33, v34, v54
	v_fmac_f32_e32 v47, 0xbf5db3d7, v32
	v_fmac_f32_e32 v12, 0x3f5db3d7, v32
	v_add_f32_e32 v32, v64, v34
	v_fmac_f32_e32 v64, -0.5, v33
	v_fmac_f32_e32 v56, 0xbf5db3d7, v37
	v_sub_f32_e32 v33, v16, v18
	v_mov_b32_e32 v37, v64
	v_fmac_f32_e32 v37, 0x3f5db3d7, v33
	v_fmac_f32_e32 v64, 0xbf5db3d7, v33
	v_add_f32_e32 v33, v74, v16
	v_add_f32_e32 v16, v16, v18
	v_fma_f32 v13, v51, v31, -v13
	v_mul_f32_e32 v30, v78, v49
	v_mul_f32_e32 v31, v66, v49
	v_fmac_f32_e32 v74, -0.5, v16
	v_fma_f32 v30, v66, v48, -v30
	v_fmac_f32_e32 v31, v78, v48
	v_add_f32_e32 v48, v33, v18
	v_add_f32_e32 v16, v32, v54
	v_sub_f32_e32 v18, v34, v54
	v_mov_b32_e32 v34, v74
	v_add_f32_e32 v32, v15, v25
	v_fmac_f32_e32 v34, 0xbf5db3d7, v18
	v_fmac_f32_e32 v74, 0x3f5db3d7, v18
	v_add_f32_e32 v18, v61, v15
	v_fmac_f32_e32 v61, -0.5, v32
	v_sub_f32_e32 v32, v17, v26
	v_mov_b32_e32 v33, v61
	v_fmac_f32_e32 v33, 0x3f5db3d7, v32
	v_fmac_f32_e32 v61, 0xbf5db3d7, v32
	v_add_f32_e32 v32, v75, v17
	v_add_f32_e32 v17, v17, v26
	v_fmac_f32_e32 v75, -0.5, v17
	v_add_f32_e32 v17, v18, v25
	v_sub_f32_e32 v15, v15, v25
	v_mov_b32_e32 v18, v75
	v_add_f32_e32 v25, v14, v13
	v_fmac_f32_e32 v18, 0xbf5db3d7, v15
	v_fmac_f32_e32 v75, 0x3f5db3d7, v15
	v_add_f32_e32 v15, v62, v14
	v_fmac_f32_e32 v62, -0.5, v25
	v_add_f32_e32 v49, v32, v26
	v_sub_f32_e32 v25, v28, v27
	v_mov_b32_e32 v26, v62
	v_fmac_f32_e32 v26, 0x3f5db3d7, v25
	v_fmac_f32_e32 v62, 0xbf5db3d7, v25
	v_add_f32_e32 v25, v76, v28
	v_add_f32_e32 v25, v25, v27
	;; [unrolled: 1-line block ×3, first 2 shown]
	v_fmac_f32_e32 v76, -0.5, v27
	v_add_f32_e32 v15, v15, v13
	v_sub_f32_e32 v13, v14, v13
	v_mov_b32_e32 v14, v76
	v_add_f32_e32 v27, v11, v30
	v_fmac_f32_e32 v14, 0xbf5db3d7, v13
	v_fmac_f32_e32 v76, 0x3f5db3d7, v13
	v_add_f32_e32 v13, v63, v11
	v_fmac_f32_e32 v63, -0.5, v27
	v_sub_f32_e32 v27, v29, v31
	v_mov_b32_e32 v28, v63
	v_fmac_f32_e32 v28, 0x3f5db3d7, v27
	v_fmac_f32_e32 v63, 0xbf5db3d7, v27
	v_add_f32_e32 v27, v77, v29
	v_add_f32_e32 v50, v27, v31
	;; [unrolled: 1-line block ×3, first 2 shown]
	v_fmac_f32_e32 v77, -0.5, v27
	v_sub_f32_e32 v11, v11, v30
	v_mov_b32_e32 v29, v77
	v_fmac_f32_e32 v29, 0xbf5db3d7, v11
	v_fmac_f32_e32 v77, 0x3f5db3d7, v11
	v_mul_u32_u24_e32 v11, 0x48, v59
	v_lshlrev_b32_sdwa v27, v46, v60 dst_sel:DWORD dst_unused:UNUSED_PAD src0_sel:DWORD src1_sel:BYTE_0
	v_add3_u32 v11, 0, v11, v27
	ds_write_b32 v38, v56 offset:48
	ds_write2_b32 v11, v16, v37 offset1:6
	ds_write_b32 v11, v64 offset:48
	v_mul_u32_u24_e32 v16, 0x48, v67
	v_lshlrev_b32_e32 v27, 2, v68
	v_add3_u32 v16, 0, v16, v27
	ds_write2_b32 v16, v17, v33 offset1:6
	ds_write_b32 v16, v61 offset:48
	v_mul_u32_u24_e32 v17, 0x48, v69
	v_lshlrev_b32_e32 v27, 2, v70
	v_add3_u32 v17, 0, v17, v27
	ds_write2_b32 v17, v15, v26 offset1:6
	ds_write_b32 v17, v62 offset:48
	v_mul_u32_u24_e32 v15, 0x48, v71
	v_lshlrev_b32_e32 v26, 2, v72
	v_add_f32_e32 v13, v13, v30
	v_add3_u32 v15, 0, v15, v26
	ds_write2_b32 v15, v13, v28 offset1:6
	ds_write_b32 v15, v63 offset:48
	s_waitcnt lgkmcnt(0)
	s_barrier
	ds_read_b32 v52, v0
	ds_read2_b32 v[27:28], v21 offset0:108 offset1:234
	ds_read2_b32 v[32:33], v22 offset0:116 offset1:242
	;; [unrolled: 1-line block ×4, first 2 shown]
	ds_read_b32 v71, v35
	ds_read_b32 v72, v36
	ds_read_b32 v37, v23
	ds_read_b32 v73, v9
	ds_read_b32 v53, v24
	ds_read_b32 v78, v0 offset:7056
	s_waitcnt lgkmcnt(0)
	s_barrier
	ds_write2_b32 v38, v39, v47 offset1:6
	ds_write_b32 v38, v12 offset:48
	ds_write2_b32 v11, v48, v34 offset1:6
	ds_write_b32 v11, v74 offset:48
	ds_write2_b32 v16, v49, v18 offset1:6
	ds_write_b32 v16, v75 offset:48
	ds_write2_b32 v17, v25, v14 offset1:6
	ds_write_b32 v17, v76 offset:48
	ds_write2_b32 v15, v50, v29 offset1:6
	ds_write_b32 v15, v77 offset:48
	v_mov_b32_e32 v15, 57
	v_mul_lo_u16_sdwa v11, v40, v15 dst_sel:DWORD dst_unused:UNUSED_PAD src0_sel:BYTE_0 src1_sel:DWORD
	v_lshrrev_b16_e32 v74, 10, v11
	v_mul_lo_u16_e32 v11, 18, v74
	v_sub_u16_e32 v75, v40, v11
	v_mul_lo_u16_sdwa v15, v43, v15 dst_sel:DWORD dst_unused:UNUSED_PAD src0_sel:BYTE_0 src1_sel:DWORD
	v_lshlrev_b32_sdwa v11, v58, v75 dst_sel:DWORD dst_unused:UNUSED_PAD src0_sel:DWORD src1_sel:BYTE_0
	v_lshrrev_b16_e32 v76, 10, v15
	s_waitcnt lgkmcnt(0)
	s_barrier
	global_load_dwordx4 v[11:14], v11, s[12:13] offset:128
	v_mul_lo_u16_e32 v15, 18, v76
	v_sub_u16_e32 v77, v43, v15
	v_lshlrev_b32_sdwa v15, v58, v77 dst_sel:DWORD dst_unused:UNUSED_PAD src0_sel:DWORD src1_sel:BYTE_0
	global_load_dwordx4 v[15:18], v15, s[12:13] offset:128
	v_mul_u32_u24_sdwa v25, v42, s0 dst_sel:DWORD dst_unused:UNUSED_PAD src0_sel:WORD_0 src1_sel:DWORD
	v_lshrrev_b32_e32 v79, 20, v25
	v_mul_lo_u16_e32 v25, 18, v79
	v_sub_u16_e32 v80, v42, v25
	v_lshlrev_b32_e32 v25, 4, v80
	global_load_dwordx4 v[48:51], v25, s[12:13] offset:128
	v_mul_u32_u24_sdwa v25, v44, s0 dst_sel:DWORD dst_unused:UNUSED_PAD src0_sel:WORD_0 src1_sel:DWORD
	v_lshrrev_b32_e32 v81, 20, v25
	v_mul_lo_u16_e32 v25, 18, v81
	v_sub_u16_e32 v82, v44, v25
	v_lshlrev_b32_e32 v25, 4, v82
	;; [unrolled: 6-line block ×3, first 2 shown]
	global_load_dwordx4 v[63:66], v25, s[12:13] offset:128
	ds_read2_b32 v[29:30], v21 offset0:108 offset1:234
	ds_read2_b32 v[21:22], v22 offset0:116 offset1:242
	ds_read_b32 v34, v24
	ds_read_b32 v25, v9
	;; [unrolled: 1-line block ×5, first 2 shown]
	ds_read_b32 v84, v0 offset:7056
	v_cmp_gt_u32_e64 s[0:1], 18, v40
	s_waitcnt vmcnt(4) lgkmcnt(5)
	v_mul_f32_e32 v23, v34, v12
	v_fma_f32 v31, v53, v11, -v23
	v_mul_f32_e32 v53, v53, v12
	v_fmac_f32_e32 v53, v34, v11
	v_mul_f32_e32 v11, v29, v14
	v_fma_f32 v54, v27, v13, -v11
	v_mul_f32_e32 v58, v27, v14
	s_waitcnt vmcnt(3)
	v_mul_f32_e32 v11, v21, v16
	v_fmac_f32_e32 v58, v29, v13
	v_fma_f32 v29, v32, v15, -v11
	v_mul_f32_e32 v11, v30, v18
	v_fma_f32 v34, v28, v17, -v11
	ds_read2_b32 v[11:12], v20 offset0:104 offset1:230
	s_waitcnt vmcnt(2)
	v_mul_f32_e32 v13, v22, v49
	v_mul_f32_e32 v56, v28, v18
	v_fma_f32 v28, v33, v48, -v13
	v_mul_f32_e32 v57, v67, v51
	s_waitcnt lgkmcnt(0)
	v_mul_f32_e32 v13, v11, v51
	v_fma_f32 v44, v67, v50, -v13
	ds_read2_b32 v[13:14], v19 offset0:112 offset1:238
	v_fmac_f32_e32 v57, v11, v50
	s_waitcnt vmcnt(1)
	v_mul_f32_e32 v11, v12, v62
	v_fma_f32 v27, v68, v61, -v11
	v_mul_f32_e32 v47, v32, v16
	s_waitcnt lgkmcnt(0)
	v_mul_f32_e32 v11, v13, v60
	v_mul_f32_e32 v39, v33, v49
	v_mul_f32_e32 v33, v68, v62
	v_fma_f32 v32, v69, v59, -v11
	s_waitcnt vmcnt(0)
	v_mul_f32_e32 v11, v14, v64
	v_fmac_f32_e32 v33, v12, v61
	v_fma_f32 v23, v70, v63, -v11
	v_mul_f32_e32 v11, v84, v66
	v_add_f32_e32 v12, v31, v54
	v_fmac_f32_e32 v56, v30, v17
	v_mul_f32_e32 v55, v69, v60
	v_mul_f32_e32 v30, v70, v64
	v_fma_f32 v60, v78, v65, -v11
	v_add_f32_e32 v11, v52, v31
	v_fmac_f32_e32 v52, -0.5, v12
	v_fmac_f32_e32 v55, v13, v59
	v_fmac_f32_e32 v30, v14, v63
	v_sub_f32_e32 v12, v53, v58
	v_mov_b32_e32 v13, v52
	v_add_f32_e32 v14, v29, v34
	v_fmac_f32_e32 v47, v21, v15
	v_fmac_f32_e32 v13, 0x3f5db3d7, v12
	;; [unrolled: 1-line block ×3, first 2 shown]
	v_add_f32_e32 v12, v73, v29
	v_fmac_f32_e32 v73, -0.5, v14
	v_sub_f32_e32 v14, v47, v56
	v_mov_b32_e32 v15, v73
	v_add_f32_e32 v16, v28, v44
	v_fmac_f32_e32 v39, v22, v48
	v_fmac_f32_e32 v15, 0x3f5db3d7, v14
	;; [unrolled: 1-line block ×3, first 2 shown]
	v_add_f32_e32 v14, v71, v28
	v_fmac_f32_e32 v71, -0.5, v16
	v_sub_f32_e32 v16, v39, v57
	v_mov_b32_e32 v17, v71
	v_fmac_f32_e32 v17, 0x3f5db3d7, v16
	v_fmac_f32_e32 v71, 0xbf5db3d7, v16
	v_mul_u32_u24_e32 v16, 0xd8, v74
	v_lshlrev_b32_sdwa v18, v46, v75 dst_sel:DWORD dst_unused:UNUSED_PAD src0_sel:DWORD src1_sel:BYTE_0
	v_add3_u32 v62, 0, v16, v18
	v_add_f32_e32 v11, v11, v54
	ds_read_b32 v59, v0
	s_waitcnt lgkmcnt(0)
	s_barrier
	ds_write2_b32 v62, v11, v13 offset1:18
	v_add_f32_e32 v13, v32, v27
	v_add_f32_e32 v11, v72, v32
	v_fmac_f32_e32 v72, -0.5, v13
	v_mul_f32_e32 v61, v78, v66
	v_sub_f32_e32 v13, v55, v33
	v_mov_b32_e32 v16, v72
	v_add_f32_e32 v18, v23, v60
	v_fmac_f32_e32 v61, v84, v65
	v_fmac_f32_e32 v16, 0x3f5db3d7, v13
	v_fmac_f32_e32 v72, 0xbf5db3d7, v13
	v_add_f32_e32 v13, v37, v23
	v_fmac_f32_e32 v37, -0.5, v18
	v_sub_f32_e32 v18, v30, v61
	v_mov_b32_e32 v19, v37
	v_fmac_f32_e32 v19, 0x3f5db3d7, v18
	v_fmac_f32_e32 v37, 0xbf5db3d7, v18
	v_lshlrev_b32_sdwa v18, v46, v77 dst_sel:DWORD dst_unused:UNUSED_PAD src0_sel:DWORD src1_sel:BYTE_0
	v_mul_u32_u24_e32 v20, 0xd8, v76
	v_add_f32_e32 v12, v12, v34
	v_add3_u32 v63, 0, v20, v18
	ds_write_b32 v62, v52 offset:144
	ds_write2_b32 v63, v12, v15 offset1:18
	ds_write_b32 v63, v73 offset:144
	v_mul_u32_u24_e32 v12, 0xd8, v79
	v_lshlrev_b32_e32 v15, 2, v80
	v_add_f32_e32 v14, v14, v44
	v_add3_u32 v64, 0, v12, v15
	ds_write2_b32 v64, v14, v17 offset1:18
	ds_write_b32 v64, v71 offset:144
	v_mul_u32_u24_e32 v12, 0xd8, v81
	v_lshlrev_b32_e32 v14, 2, v82
	v_add_f32_e32 v11, v11, v27
	v_add3_u32 v65, 0, v12, v14
	;; [unrolled: 6-line block ×3, first 2 shown]
	v_add_u32_e32 v67, 0x400, v0
	ds_write2_b32 v66, v13, v19 offset1:18
	ds_write_b32 v66, v37 offset:144
	s_waitcnt lgkmcnt(0)
	s_barrier
	ds_read2_b32 v[11:12], v67 offset0:14 offset1:140
	v_add_u32_e32 v68, 0x800, v0
	v_add_u32_e32 v69, 0xc00, v0
	;; [unrolled: 1-line block ×5, first 2 shown]
	ds_read_b32 v46, v0
	ds_read_b32 v45, v9
	ds_read2_b32 v[21:22], v68 offset0:28 offset1:154
	ds_read2_b32 v[19:20], v69 offset0:42 offset1:168
	;; [unrolled: 1-line block ×5, first 2 shown]
                                        ; implicit-def: $vgpr52
                                        ; implicit-def: $vgpr50
                                        ; implicit-def: $vgpr48
                                        ; implicit-def: $vgpr49
                                        ; implicit-def: $vgpr51
	s_and_saveexec_b64 s[6:7], s[0:1]
	s_cbranch_execz .LBB0_21
; %bb.20:
	ds_read_b32 v7, v0 offset:2088
	ds_read_b32 v52, v0 offset:3168
	;; [unrolled: 1-line block ×5, first 2 shown]
	ds_read_b32 v37, v35
	ds_read_b32 v48, v0 offset:7488
.LBB0_21:
	s_or_b64 exec, exec, s[6:7]
	v_add_f32_e32 v73, v59, v53
	v_add_f32_e32 v53, v53, v58
	v_fmac_f32_e32 v59, -0.5, v53
	v_sub_f32_e32 v31, v31, v54
	v_mov_b32_e32 v53, v59
	v_fmac_f32_e32 v53, 0xbf5db3d7, v31
	v_fmac_f32_e32 v59, 0x3f5db3d7, v31
	v_add_f32_e32 v31, v25, v47
	v_add_f32_e32 v47, v47, v56
	v_fmac_f32_e32 v25, -0.5, v47
	v_sub_f32_e32 v29, v29, v34
	v_mov_b32_e32 v34, v25
	v_fmac_f32_e32 v34, 0xbf5db3d7, v29
	v_fmac_f32_e32 v25, 0x3f5db3d7, v29
	;; [unrolled: 7-line block ×3, first 2 shown]
	v_add_f32_e32 v28, v26, v55
	v_add_f32_e32 v28, v28, v33
	;; [unrolled: 1-line block ×3, first 2 shown]
	v_fmac_f32_e32 v26, -0.5, v33
	v_sub_f32_e32 v27, v32, v27
	v_mov_b32_e32 v32, v26
	v_fmac_f32_e32 v32, 0xbf5db3d7, v27
	v_fmac_f32_e32 v26, 0x3f5db3d7, v27
	v_add_f32_e32 v27, v38, v30
	v_add_f32_e32 v30, v30, v61
	v_fmac_f32_e32 v38, -0.5, v30
	v_sub_f32_e32 v23, v23, v60
	v_mov_b32_e32 v30, v38
	v_add_f32_e32 v73, v73, v58
	v_add_f32_e32 v31, v31, v56
	;; [unrolled: 1-line block ×4, first 2 shown]
	v_fmac_f32_e32 v30, 0xbf5db3d7, v23
	v_fmac_f32_e32 v38, 0x3f5db3d7, v23
	s_waitcnt lgkmcnt(0)
	s_barrier
	ds_write2_b32 v62, v73, v53 offset1:18
	ds_write_b32 v62, v59 offset:144
	ds_write2_b32 v63, v31, v34 offset1:18
	ds_write_b32 v63, v25 offset:144
	;; [unrolled: 2-line block ×5, first 2 shown]
	s_waitcnt lgkmcnt(0)
	s_barrier
	ds_read2_b32 v[33:34], v67 offset0:14 offset1:140
	ds_read2_b32 v[31:32], v68 offset0:28 offset1:154
	;; [unrolled: 1-line block ×6, first 2 shown]
	ds_read_b32 v44, v0
	ds_read_b32 v39, v9
                                        ; implicit-def: $vgpr57
                                        ; implicit-def: $vgpr55
                                        ; implicit-def: $vgpr53
                                        ; implicit-def: $vgpr54
                                        ; implicit-def: $vgpr56
	s_and_saveexec_b64 s[6:7], s[0:1]
	s_cbranch_execz .LBB0_23
; %bb.22:
	ds_read_b32 v10, v0 offset:2088
	ds_read_b32 v57, v0 offset:3168
	;; [unrolled: 1-line block ×5, first 2 shown]
	ds_read_b32 v38, v35
	ds_read_b32 v53, v0 offset:7488
.LBB0_23:
	s_or_b64 exec, exec, s[6:7]
	v_mov_b32_e32 v70, 19
	v_mul_lo_u16_sdwa v47, v40, v70 dst_sel:DWORD dst_unused:UNUSED_PAD src0_sel:BYTE_0 src1_sel:DWORD
	v_lshrrev_b16_e32 v71, 10, v47
	v_mul_lo_u16_e32 v47, 54, v71
	v_sub_u16_e32 v72, v40, v47
	v_mov_b32_e32 v73, 6
	v_mul_u32_u24_sdwa v47, v72, v73 dst_sel:DWORD dst_unused:UNUSED_PAD src0_sel:BYTE_0 src1_sel:DWORD
	v_lshlrev_b32_e32 v47, 3, v47
	global_load_dwordx4 v[58:61], v47, s[12:13] offset:448
	global_load_dwordx4 v[62:65], v47, s[12:13] offset:432
	;; [unrolled: 1-line block ×3, first 2 shown]
	s_mov_b32 s8, 0x3f5ff5aa
	s_mov_b32 s9, 0x3f3bfb3b
	;; [unrolled: 1-line block ×4, first 2 shown]
	s_waitcnt vmcnt(0) lgkmcnt(7)
	v_mul_f32_e32 v47, v33, v67
	v_fma_f32 v47, v11, v66, -v47
	v_mul_f32_e32 v11, v11, v67
	v_fmac_f32_e32 v11, v33, v66
	s_waitcnt lgkmcnt(6)
	v_mul_f32_e32 v33, v31, v69
	v_fma_f32 v33, v21, v68, -v33
	v_mul_f32_e32 v21, v21, v69
	v_fmac_f32_e32 v21, v31, v68
	s_waitcnt lgkmcnt(5)
	;; [unrolled: 5-line block ×5, first 2 shown]
	v_mul_f32_e32 v25, v23, v61
	v_fma_f32 v25, v13, v60, -v25
	v_mul_f32_e32 v13, v13, v61
	v_fmac_f32_e32 v13, v23, v60
	v_mul_lo_u16_sdwa v23, v43, v70 dst_sel:DWORD dst_unused:UNUSED_PAD src0_sel:BYTE_0 src1_sel:DWORD
	v_lshrrev_b16_e32 v70, 10, v23
	v_mul_lo_u16_e32 v23, 54, v70
	v_sub_u16_e32 v74, v43, v23
	v_mul_u32_u24_sdwa v23, v74, v73 dst_sel:DWORD dst_unused:UNUSED_PAD src0_sel:BYTE_0 src1_sel:DWORD
	v_lshlrev_b32_e32 v23, 3, v23
	global_load_dwordx4 v[58:61], v23, s[12:13] offset:448
	global_load_dwordx4 v[62:65], v23, s[12:13] offset:432
	;; [unrolled: 1-line block ×3, first 2 shown]
	s_waitcnt vmcnt(0)
	v_mul_f32_e32 v23, v34, v67
	v_fma_f32 v23, v12, v66, -v23
	v_mul_f32_e32 v12, v12, v67
	v_fmac_f32_e32 v12, v34, v66
	v_mul_f32_e32 v34, v32, v69
	v_fma_f32 v34, v22, v68, -v34
	v_mul_f32_e32 v22, v22, v69
	v_fmac_f32_e32 v22, v32, v68
	;; [unrolled: 4-line block ×6, first 2 shown]
	v_lshrrev_b16_e32 v24, 1, v42
	v_mul_u32_u24_e32 v24, 0x97b5, v24
	v_lshrrev_b32_e32 v24, 20, v24
	v_mul_lo_u16_e32 v24, 54, v24
	v_sub_u16_e32 v24, v42, v24
	v_mul_u32_u24_e32 v42, 6, v24
	v_lshlrev_b32_e32 v42, 3, v42
	global_load_dwordx4 v[58:61], v42, s[12:13] offset:448
	global_load_dwordx4 v[62:65], v42, s[12:13] offset:432
	;; [unrolled: 1-line block ×3, first 2 shown]
	s_waitcnt vmcnt(0) lgkmcnt(0)
	s_barrier
	v_mul_f32_e32 v42, v10, v67
	v_fma_f32 v42, v7, v66, -v42
	v_mul_f32_e32 v7, v7, v67
	v_fmac_f32_e32 v7, v10, v66
	v_mul_f32_e32 v10, v57, v69
	v_fma_f32 v43, v52, v68, -v10
	v_mul_f32_e32 v52, v52, v69
	v_mul_f32_e32 v10, v56, v63
	v_fmac_f32_e32 v52, v57, v68
	v_fma_f32 v57, v51, v62, -v10
	v_mul_f32_e32 v51, v51, v63
	v_mul_f32_e32 v10, v55, v65
	v_fmac_f32_e32 v51, v56, v62
	v_fma_f32 v56, v50, v64, -v10
	v_mul_f32_e32 v50, v50, v65
	v_mul_f32_e32 v10, v54, v59
	v_fmac_f32_e32 v50, v55, v64
	v_fma_f32 v55, v49, v58, -v10
	v_mul_f32_e32 v49, v49, v59
	v_mul_f32_e32 v10, v53, v61
	v_fmac_f32_e32 v49, v54, v58
	v_fma_f32 v54, v48, v60, -v10
	v_mul_f32_e32 v48, v48, v61
	v_add_f32_e32 v10, v47, v25
	v_add_f32_e32 v58, v33, v27
	v_fmac_f32_e32 v48, v53, v60
	v_add_f32_e32 v60, v31, v29
	v_add_f32_e32 v62, v58, v10
	v_sub_f32_e32 v53, v11, v13
	v_sub_f32_e32 v59, v21, v15
	;; [unrolled: 1-line block ×6, first 2 shown]
	v_add_f32_e32 v60, v60, v62
	v_add_f32_e32 v64, v61, v59
	v_sub_f32_e32 v65, v61, v59
	v_sub_f32_e32 v59, v59, v53
	v_add_f32_e32 v62, v46, v60
	v_sub_f32_e32 v61, v53, v61
	v_add_f32_e32 v53, v64, v53
	v_mul_f32_e32 v10, 0x3f4a47b2, v10
	v_mul_f32_e32 v46, 0x3d64c772, v58
	;; [unrolled: 1-line block ×4, first 2 shown]
	v_mov_b32_e32 v66, v62
	v_fmac_f32_e32 v66, 0xbf955555, v60
	v_fma_f32 v46, v63, s9, -v46
	v_fma_f32 v60, v63, s14, -v10
	v_fmac_f32_e32 v10, 0x3d64c772, v58
	v_fma_f32 v58, v59, s8, -v64
	v_fma_f32 v59, v61, s15, -v65
	v_add_f32_e32 v46, v46, v66
	v_add_f32_e32 v60, v60, v66
	v_fmac_f32_e32 v58, 0x3ee1c552, v53
	v_fmac_f32_e32 v59, 0x3ee1c552, v53
	;; [unrolled: 1-line block ×3, first 2 shown]
	v_add_f32_e32 v61, v59, v60
	v_sub_f32_e32 v63, v46, v58
	v_add_f32_e32 v65, v58, v46
	v_sub_f32_e32 v59, v60, v59
	v_add_f32_e32 v46, v23, v26
	v_add_f32_e32 v60, v34, v28
	;; [unrolled: 1-line block ×3, first 2 shown]
	v_fmac_f32_e32 v64, 0x3ee1c552, v53
	v_add_f32_e32 v66, v32, v30
	v_add_f32_e32 v68, v60, v46
	;; [unrolled: 1-line block ×3, first 2 shown]
	v_sub_f32_e32 v10, v10, v64
	v_sub_f32_e32 v58, v12, v14
	v_sub_f32_e32 v64, v22, v16
	v_sub_f32_e32 v67, v18, v20
	v_sub_f32_e32 v69, v60, v46
	v_sub_f32_e32 v46, v46, v66
	v_sub_f32_e32 v60, v66, v60
	v_add_f32_e32 v66, v66, v68
	v_add_f32_e32 v73, v67, v64
	v_sub_f32_e32 v75, v67, v64
	v_sub_f32_e32 v64, v64, v58
	v_add_f32_e32 v45, v45, v66
	v_sub_f32_e32 v67, v58, v67
	v_add_f32_e32 v58, v73, v58
	v_mul_f32_e32 v46, 0x3f4a47b2, v46
	v_mul_f32_e32 v68, 0x3d64c772, v60
	;; [unrolled: 1-line block ×4, first 2 shown]
	v_mov_b32_e32 v76, v45
	v_fmac_f32_e32 v76, 0xbf955555, v66
	v_fma_f32 v66, v69, s9, -v68
	v_fma_f32 v68, v69, s14, -v46
	v_fmac_f32_e32 v46, 0x3d64c772, v60
	v_fma_f32 v60, v64, s8, -v73
	v_fma_f32 v64, v67, s15, -v75
	v_fmac_f32_e32 v73, 0x3eae86e6, v67
	v_add_f32_e32 v67, v68, v76
	v_fmac_f32_e32 v64, 0x3ee1c552, v58
	v_add_f32_e32 v46, v46, v76
	v_add_f32_e32 v66, v66, v76
	v_fmac_f32_e32 v73, 0x3ee1c552, v58
	v_fmac_f32_e32 v60, 0x3ee1c552, v58
	v_add_f32_e32 v69, v64, v67
	v_sub_f32_e32 v64, v67, v64
	v_mov_b32_e32 v67, 2
	v_add_f32_e32 v68, v73, v46
	v_sub_f32_e32 v75, v66, v60
	v_add_f32_e32 v60, v60, v66
	v_sub_f32_e32 v66, v46, v73
	v_mul_u32_u24_e32 v46, 0x5e8, v71
	v_lshlrev_b32_sdwa v58, v67, v72 dst_sel:DWORD dst_unused:UNUSED_PAD src0_sel:DWORD src1_sel:BYTE_0
	v_add3_u32 v46, 0, v46, v58
	v_add_u32_e32 v58, 0x200, v46
	ds_write2_b32 v46, v62, v53 offset1:54
	ds_write2_b32 v46, v61, v63 offset0:108 offset1:162
	ds_write2_b32 v58, v65, v59 offset0:88 offset1:142
	ds_write_b32 v46, v10 offset:1296
	v_mul_u32_u24_e32 v10, 0x5e8, v70
	v_lshlrev_b32_sdwa v53, v67, v74 dst_sel:DWORD dst_unused:UNUSED_PAD src0_sel:DWORD src1_sel:BYTE_0
	v_add3_u32 v53, 0, v10, v53
	ds_write2_b32 v53, v45, v68 offset1:54
	ds_write2_b32 v53, v69, v75 offset0:108 offset1:162
	v_add_u32_e32 v59, 0x200, v53
	v_lshl_add_u32 v45, v24, 2, 0
	ds_write2_b32 v59, v60, v64 offset0:88 offset1:142
	ds_write_b32 v53, v66 offset:1296
	s_and_saveexec_b64 s[6:7], s[0:1]
	s_cbranch_execz .LBB0_25
; %bb.24:
	v_add_f32_e32 v10, v42, v54
	v_add_f32_e32 v24, v57, v56
	v_sub_f32_e32 v60, v10, v24
	v_mul_f32_e32 v60, 0x3f4a47b2, v60
	v_add_f32_e32 v61, v43, v55
	v_sub_f32_e32 v62, v24, v61
	v_mov_b32_e32 v64, v60
	v_mul_f32_e32 v63, 0x3d64c772, v62
	v_fmac_f32_e32 v64, 0x3d64c772, v62
	v_add_f32_e32 v62, v61, v10
	v_add_f32_e32 v24, v24, v62
	v_add_f32_e32 v37, v37, v24
	v_mov_b32_e32 v62, v37
	v_sub_f32_e32 v65, v50, v51
	v_sub_f32_e32 v67, v52, v49
	v_fmac_f32_e32 v62, 0xbf955555, v24
	v_sub_f32_e32 v68, v65, v67
	v_add_f32_e32 v24, v64, v62
	v_sub_f32_e32 v64, v7, v48
	v_mul_f32_e32 v68, 0xbf08b237, v68
	v_sub_f32_e32 v66, v64, v65
	v_mov_b32_e32 v69, v68
	v_add_f32_e32 v65, v65, v67
	v_sub_f32_e32 v10, v61, v10
	v_sub_f32_e32 v61, v67, v64
	v_fmac_f32_e32 v69, 0x3eae86e6, v66
	v_add_f32_e32 v65, v65, v64
	v_fma_f32 v60, v10, s14, -v60
	v_mul_f32_e32 v64, 0x3f5ff5aa, v61
	v_fma_f32 v61, v61, s8, -v68
	v_fma_f32 v10, v10, s9, -v63
	v_fmac_f32_e32 v69, 0x3ee1c552, v65
	v_fma_f32 v64, v66, s15, -v64
	v_fmac_f32_e32 v61, 0x3ee1c552, v65
	v_add_f32_e32 v10, v10, v62
	v_sub_f32_e32 v70, v24, v69
	v_add_f32_e32 v60, v60, v62
	v_fmac_f32_e32 v64, 0x3ee1c552, v65
	v_add_f32_e32 v62, v61, v10
	v_sub_f32_e32 v10, v10, v61
	v_add_f32_e32 v24, v69, v24
	v_add_u32_e32 v61, 0x1600, v45
	v_sub_f32_e32 v66, v60, v64
	v_add_f32_e32 v60, v64, v60
	ds_write2_b32 v61, v37, v24 offset0:104 offset1:158
	v_add_u32_e32 v24, 0x1800, v45
	ds_write2_b32 v24, v60, v10 offset0:84 offset1:138
	ds_write2_b32 v24, v62, v66 offset0:192 offset1:246
	ds_write_b32 v45, v70 offset:7344
.LBB0_25:
	s_or_b64 exec, exec, s[6:7]
	v_add_f32_e32 v10, v11, v13
	v_add_f32_e32 v13, v21, v15
	;; [unrolled: 1-line block ×4, first 2 shown]
	v_sub_f32_e32 v11, v47, v25
	v_sub_f32_e32 v15, v33, v27
	v_sub_f32_e32 v19, v29, v31
	v_sub_f32_e32 v24, v13, v10
	v_sub_f32_e32 v10, v10, v17
	v_sub_f32_e32 v13, v17, v13
	v_add_f32_e32 v17, v17, v21
	v_add_f32_e32 v25, v19, v15
	v_sub_f32_e32 v27, v19, v15
	v_sub_f32_e32 v15, v15, v11
	v_add_f32_e32 v33, v44, v17
	v_sub_f32_e32 v19, v11, v19
	v_add_f32_e32 v11, v25, v11
	v_mul_f32_e32 v10, 0x3f4a47b2, v10
	v_mul_f32_e32 v21, 0x3d64c772, v13
	;; [unrolled: 1-line block ×4, first 2 shown]
	v_mov_b32_e32 v29, v33
	v_fmac_f32_e32 v29, 0xbf955555, v17
	v_fma_f32 v17, v24, s9, -v21
	v_fma_f32 v21, v24, s14, -v10
	v_fmac_f32_e32 v10, 0x3d64c772, v13
	v_fma_f32 v13, v15, s8, -v25
	v_fmac_f32_e32 v25, 0x3eae86e6, v19
	v_fma_f32 v15, v19, s15, -v27
	v_add_f32_e32 v10, v10, v29
	v_add_f32_e32 v19, v21, v29
	v_fmac_f32_e32 v25, 0x3ee1c552, v11
	v_fmac_f32_e32 v15, 0x3ee1c552, v11
	v_sub_f32_e32 v37, v10, v25
	v_sub_f32_e32 v44, v19, v15
	v_add_f32_e32 v15, v15, v19
	v_add_f32_e32 v19, v25, v10
	;; [unrolled: 1-line block ×5, first 2 shown]
	v_fmac_f32_e32 v13, 0x3ee1c552, v11
	v_add_f32_e32 v14, v20, v18
	v_add_f32_e32 v18, v12, v10
	;; [unrolled: 1-line block ×3, first 2 shown]
	v_sub_f32_e32 v17, v17, v13
	v_sub_f32_e32 v13, v34, v28
	;; [unrolled: 1-line block ×6, first 2 shown]
	v_add_f32_e32 v14, v14, v18
	v_sub_f32_e32 v11, v23, v26
	v_add_f32_e32 v21, v16, v13
	v_sub_f32_e32 v22, v16, v13
	;; [unrolled: 2-line block ×3, first 2 shown]
	v_sub_f32_e32 v13, v13, v11
	v_add_f32_e32 v11, v21, v11
	v_mul_f32_e32 v10, 0x3f4a47b2, v10
	v_mul_f32_e32 v21, 0x3d64c772, v12
	;; [unrolled: 1-line block ×3, first 2 shown]
	v_mov_b32_e32 v24, v18
	v_mul_f32_e32 v23, 0x3f5ff5aa, v13
	v_fmac_f32_e32 v24, 0xbf955555, v14
	v_fma_f32 v14, v20, s9, -v21
	v_fma_f32 v20, v20, s14, -v10
	v_fmac_f32_e32 v10, 0x3d64c772, v12
	v_fma_f32 v12, v13, s8, -v22
	v_fmac_f32_e32 v22, 0x3eae86e6, v16
	v_fma_f32 v13, v16, s15, -v23
	v_add_f32_e32 v10, v10, v24
	v_fmac_f32_e32 v22, 0x3ee1c552, v11
	v_add_f32_e32 v14, v14, v24
	v_add_f32_e32 v16, v20, v24
	v_fmac_f32_e32 v12, 0x3ee1c552, v11
	v_fmac_f32_e32 v13, 0x3ee1c552, v11
	v_sub_f32_e32 v32, v10, v22
	v_add_f32_e32 v60, v22, v10
	v_add_u32_e32 v10, 0x1000, v0
	v_sub_f32_e32 v34, v16, v13
	v_add_f32_e32 v39, v12, v14
	v_sub_f32_e32 v14, v14, v12
	v_add_f32_e32 v16, v13, v16
	s_waitcnt lgkmcnt(0)
	s_barrier
	ds_read2_b32 v[12:13], v10 offset0:110 offset1:236
	v_add_u32_e32 v10, 0x1400, v0
	v_add_u32_e32 v22, 0xc00, v0
	v_lshl_add_u32 v30, v41, 2, 0
	ds_read2_b32 v[10:11], v10 offset0:106 offset1:232
	ds_read_b32 v26, v0
	ds_read_b32 v27, v30
	;; [unrolled: 1-line block ×3, first 2 shown]
	v_add_u32_e32 v20, 0x600, v0
	ds_read2_b32 v[24:25], v22 offset0:114 offset1:240
	v_add_u32_e32 v22, 0x1800, v0
	ds_read2_b32 v[20:21], v20 offset0:120 offset1:246
	ds_read2_b32 v[22:23], v22 offset0:102 offset1:228
	ds_read_b32 v28, v36
	ds_read_b32 v31, v35
	s_waitcnt lgkmcnt(0)
	s_barrier
	ds_write2_b32 v46, v33, v37 offset1:54
	ds_write2_b32 v46, v44, v47 offset0:108 offset1:162
	ds_write2_b32 v58, v17, v15 offset0:88 offset1:142
	ds_write_b32 v46, v19 offset:1296
	ds_write2_b32 v53, v18, v32 offset1:54
	ds_write2_b32 v53, v34, v39 offset0:108 offset1:162
	ds_write2_b32 v59, v14, v16 offset0:88 offset1:142
	ds_write_b32 v53, v60 offset:1296
	s_and_saveexec_b64 s[6:7], s[0:1]
	s_cbranch_execz .LBB0_27
; %bb.26:
	v_add_f32_e32 v7, v7, v48
	v_add_f32_e32 v15, v52, v49
	;; [unrolled: 1-line block ×4, first 2 shown]
	v_sub_f32_e32 v16, v43, v55
	v_sub_f32_e32 v18, v56, v57
	;; [unrolled: 1-line block ×5, first 2 shown]
	v_add_f32_e32 v17, v17, v19
	v_sub_f32_e32 v14, v42, v54
	v_add_f32_e32 v33, v18, v16
	v_add_f32_e32 v19, v38, v17
	v_sub_f32_e32 v34, v18, v16
	v_sub_f32_e32 v18, v14, v18
	;; [unrolled: 1-line block ×3, first 2 shown]
	v_add_f32_e32 v14, v33, v14
	v_mul_f32_e32 v33, 0x3d64c772, v15
	v_mov_b32_e32 v38, v19
	s_mov_b32 s1, 0x3f3bfb3b
	v_mul_f32_e32 v7, 0x3f4a47b2, v7
	v_mul_f32_e32 v34, 0xbf08b237, v34
	s_mov_b32 s0, 0x3f5ff5aa
	v_fmac_f32_e32 v38, 0xbf955555, v17
	v_fma_f32 v17, v32, s1, -v33
	s_mov_b32 s1, 0xbf3bfb3b
	v_mul_f32_e32 v37, 0x3f5ff5aa, v16
	v_fma_f32 v32, v32, s1, -v7
	v_fmac_f32_e32 v7, 0x3d64c772, v15
	v_fma_f32 v15, v16, s0, -v34
	v_fmac_f32_e32 v34, 0x3eae86e6, v18
	s_mov_b32 s0, 0xbeae86e6
	v_fma_f32 v16, v18, s0, -v37
	v_add_f32_e32 v7, v7, v38
	v_add_f32_e32 v17, v17, v38
	v_fmac_f32_e32 v34, 0x3ee1c552, v14
	v_fmac_f32_e32 v15, 0x3ee1c552, v14
	v_add_f32_e32 v18, v32, v38
	v_fmac_f32_e32 v16, 0x3ee1c552, v14
	v_sub_f32_e32 v14, v7, v34
	v_add_f32_e32 v33, v15, v17
	v_sub_f32_e32 v15, v17, v15
	v_add_u32_e32 v17, 0x1600, v45
	v_sub_f32_e32 v32, v18, v16
	ds_write2_b32 v17, v19, v14 offset0:104 offset1:158
	v_add_u32_e32 v14, 0x1800, v45
	v_add_f32_e32 v16, v16, v18
	v_add_f32_e32 v7, v34, v7
	ds_write2_b32 v14, v32, v33 offset0:84 offset1:138
	ds_write2_b32 v14, v15, v16 offset0:192 offset1:246
	ds_write_b32 v45, v7 offset:7344
.LBB0_27:
	s_or_b64 exec, exec, s[6:7]
	s_waitcnt lgkmcnt(0)
	s_barrier
	s_and_saveexec_b64 s[0:1], vcc
	s_cbranch_execz .LBB0_29
; %bb.28:
	v_mov_b32_e32 v7, 0
	v_lshlrev_b64 v[14:15], 3, v[6:7]
	v_mov_b32_e32 v45, s13
	v_add_co_u32_e32 v14, vcc, s12, v14
	v_addc_co_u32_e32 v15, vcc, v45, v15, vcc
	global_load_dwordx4 v[16:19], v[14:15], off offset:3008
	global_load_dwordx4 v[41:44], v[14:15], off offset:3024
	v_mul_lo_u32 v6, s5, v3
	v_mul_lo_u32 v32, s4, v4
	v_mad_u64_u32 v[14:15], s[0:1], s4, v3, 0
	v_add_u32_e32 v3, 0x600, v0
	v_add_u32_e32 v4, 0xc00, v0
	v_add_u32_e32 v33, 0x1800, v0
	v_add_u32_e32 v34, 0x1400, v0
	ds_read_b32 v57, v36
	ds_read_b32 v46, v35
	;; [unrolled: 1-line block ×3, first 2 shown]
	ds_read2_b32 v[49:50], v3 offset0:120 offset1:246
	ds_read2_b32 v[51:52], v4 offset0:114 offset1:240
	;; [unrolled: 1-line block ×4, first 2 shown]
	v_mov_b32_e32 v9, v7
	v_lshlrev_b64 v[3:4], 3, v[8:9]
	v_add3_u32 v15, v15, v32, v6
	v_add_co_u32_e32 v3, vcc, s12, v3
	v_addc_co_u32_e32 v4, vcc, v45, v4, vcc
	global_load_dwordx4 v[32:35], v[3:4], off offset:3024
	global_load_dwordx4 v[36:39], v[3:4], off offset:3008
	s_mov_b32 s0, 0xad602b59
	v_lshlrev_b64 v[14:15], 3, v[14:15]
	s_movk_i32 s6, 0x762
	s_waitcnt vmcnt(3) lgkmcnt(3)
	v_mul_f32_e32 v6, v16, v50
	s_waitcnt lgkmcnt(2)
	v_mul_f32_e32 v47, v18, v52
	s_waitcnt vmcnt(2) lgkmcnt(1)
	v_mul_f32_e32 v48, v43, v54
	v_mul_f32_e32 v3, v19, v52
	;; [unrolled: 1-line block ×3, first 2 shown]
	v_fmac_f32_e32 v6, v21, v17
	v_fmac_f32_e32 v47, v25, v19
	;; [unrolled: 1-line block ×3, first 2 shown]
	s_waitcnt lgkmcnt(0)
	v_mul_f32_e32 v59, v41, v55
	v_mul_f32_e32 v4, v42, v55
	;; [unrolled: 1-line block ×3, first 2 shown]
	v_fma_f32 v25, v25, v18, -v3
	v_fma_f32 v23, v23, v43, -v9
	v_sub_f32_e32 v3, v6, v47
	v_sub_f32_e32 v43, v6, v48
	;; [unrolled: 1-line block ×3, first 2 shown]
	v_add_f32_e32 v54, v6, v48
	v_add_f32_e32 v6, v6, v46
	v_fmac_f32_e32 v59, v10, v42
	v_fma_f32 v10, v10, v41, -v4
	v_fma_f32 v21, v21, v16, -v8
	v_add_f32_e32 v6, v47, v6
	v_sub_f32_e32 v52, v59, v48
	v_sub_f32_e32 v55, v25, v21
	v_sub_f32_e32 v60, v10, v23
	v_add_f32_e32 v6, v59, v6
	v_add_f32_e32 v50, v50, v52
	;; [unrolled: 1-line block ×6, first 2 shown]
	v_sub_f32_e32 v9, v21, v25
	v_sub_f32_e32 v16, v23, v10
	v_add_f32_e32 v6, v6, v10
	v_add_f32_e32 v63, v9, v16
	v_fma_f32 v9, -0.5, v54, v46
	v_add_f32_e32 v54, v23, v6
	v_mov_b32_e32 v6, v7
	v_add_f32_e32 v8, v47, v59
	v_add_f32_e32 v17, v25, v10
	;; [unrolled: 1-line block ×3, first 2 shown]
	v_lshlrev_b64 v[5:6], 3, v[5:6]
	v_sub_f32_e32 v4, v48, v59
	v_fma_f32 v19, -0.5, v8, v46
	v_fma_f32 v18, -0.5, v17, v31
	;; [unrolled: 1-line block ×3, first 2 shown]
	v_sub_f32_e32 v41, v25, v10
	v_sub_f32_e32 v42, v21, v23
	;; [unrolled: 1-line block ×3, first 2 shown]
	v_add_f32_e32 v62, v3, v4
	v_mov_b32_e32 v4, v19
	v_mov_b32_e32 v3, v18
	;; [unrolled: 1-line block ×4, first 2 shown]
	v_add_co_u32_e32 v5, vcc, s12, v5
	v_fmac_f32_e32 v19, 0xbf737871, v42
	v_fmac_f32_e32 v4, 0x3f737871, v42
	;; [unrolled: 1-line block ×8, first 2 shown]
	v_addc_co_u32_e32 v6, vcc, v45, v6, vcc
	v_fmac_f32_e32 v19, 0xbf167918, v41
	v_fmac_f32_e32 v4, 0x3f167918, v41
	;; [unrolled: 1-line block ×8, first 2 shown]
	global_load_dwordx4 v[41:44], v[5:6], off offset:3024
	global_load_dwordx4 v[45:48], v[5:6], off offset:3008
	v_add_u32_e32 v5, 0x1000, v0
	ds_read2_b32 v[5:6], v5 offset0:110 offset1:236
	v_fmac_f32_e32 v17, 0x3e9e377a, v50
	v_fmac_f32_e32 v16, 0x3e9e377a, v52
	;; [unrolled: 1-line block ×4, first 2 shown]
	s_waitcnt vmcnt(2)
	v_mul_f32_e32 v10, v36, v49
	v_mul_f32_e32 v31, v38, v51
	;; [unrolled: 1-line block ×3, first 2 shown]
	s_waitcnt lgkmcnt(0)
	v_mul_f32_e32 v52, v32, v6
	v_fmac_f32_e32 v10, v20, v37
	v_fmac_f32_e32 v31, v24, v39
	;; [unrolled: 1-line block ×4, first 2 shown]
	v_mul_f32_e32 v6, v33, v6
	v_sub_f32_e32 v7, v10, v31
	v_sub_f32_e32 v21, v50, v52
	v_fma_f32 v13, v13, v32, -v6
	v_mul_f32_e32 v6, v37, v49
	v_add_f32_e32 v59, v7, v21
	v_mul_f32_e32 v7, v39, v51
	v_fma_f32 v33, v20, v36, -v6
	v_mul_f32_e32 v6, v35, v53
	v_fma_f32 v38, v24, v38, -v7
	v_fma_f32 v34, v22, v34, -v6
	v_add_f32_e32 v6, v31, v52
	v_fma_f32 v7, -0.5, v6, v58
	v_sub_f32_e32 v6, v33, v38
	v_sub_f32_e32 v20, v34, v13
	ds_read_b32 v36, v30
	ds_read_b32 v0, v0
	v_add_f32_e32 v30, v6, v20
	v_add_f32_e32 v6, v38, v13
	v_fma_f32 v6, -0.5, v6, v29
	v_sub_f32_e32 v22, v31, v10
	v_sub_f32_e32 v23, v52, v50
	;; [unrolled: 1-line block ×3, first 2 shown]
	v_mov_b32_e32 v20, v6
	v_add_f32_e32 v49, v22, v23
	v_add_f32_e32 v22, v10, v50
	v_add_f32_e32 v10, v10, v58
	v_fmac_f32_e32 v20, 0xbf737871, v37
	v_sub_f32_e32 v39, v31, v52
	v_fma_f32 v23, -0.5, v22, v58
	v_sub_f32_e32 v22, v38, v33
	v_sub_f32_e32 v24, v13, v34
	v_fmac_f32_e32 v6, 0x3f737871, v37
	v_add_f32_e32 v10, v31, v10
	v_fmac_f32_e32 v20, 0xbf167918, v39
	v_add_f32_e32 v51, v22, v24
	v_add_f32_e32 v22, v33, v34
	v_fmac_f32_e32 v6, 0x3f167918, v39
	v_add_f32_e32 v10, v52, v10
	v_fmac_f32_e32 v20, 0x3e9e377a, v30
	v_fma_f32 v22, -0.5, v22, v29
	v_fmac_f32_e32 v6, 0x3e9e377a, v30
	v_add_f32_e32 v30, v50, v10
	v_add_f32_e32 v10, v29, v33
	v_sub_f32_e32 v32, v38, v13
	v_mov_b32_e32 v25, v23
	v_mov_b32_e32 v24, v22
	v_add_f32_e32 v10, v10, v38
	v_sub_f32_e32 v35, v33, v34
	v_mov_b32_e32 v21, v7
	v_fmac_f32_e32 v25, 0xbf737871, v32
	v_fmac_f32_e32 v24, 0x3f737871, v39
	;; [unrolled: 1-line block ×4, first 2 shown]
	v_add_f32_e32 v10, v10, v13
	v_fmac_f32_e32 v21, 0x3f737871, v35
	v_fmac_f32_e32 v25, 0x3f167918, v35
	;; [unrolled: 1-line block ×6, first 2 shown]
	v_add_f32_e32 v29, v34, v10
	v_fmac_f32_e32 v21, 0x3f167918, v32
	v_fmac_f32_e32 v7, 0xbf167918, v32
	s_waitcnt vmcnt(1)
	v_mul_f32_e32 v35, v43, v56
	s_waitcnt vmcnt(0)
	v_mul_f32_e32 v33, v28, v46
	s_waitcnt lgkmcnt(1)
	v_mul_f32_e32 v34, v47, v36
	v_mul_f32_e32 v37, v41, v5
	v_fmac_f32_e32 v33, v57, v45
	v_fmac_f32_e32 v34, v27, v48
	;; [unrolled: 1-line block ×4, first 2 shown]
	v_sub_f32_e32 v10, v33, v34
	v_sub_f32_e32 v13, v35, v37
	v_add_f32_e32 v38, v10, v13
	v_mul_f32_e32 v10, v48, v36
	v_fma_f32 v36, v27, v47, -v10
	v_mul_f32_e32 v5, v42, v5
	v_mul_f32_e32 v10, v57, v46
	v_fma_f32 v5, v12, v41, -v5
	v_fma_f32 v41, v28, v45, -v10
	v_mul_f32_e32 v10, v44, v56
	v_sub_f32_e32 v27, v34, v33
	v_sub_f32_e32 v28, v37, v35
	v_fma_f32 v42, v11, v43, -v10
	v_add_f32_e32 v10, v34, v37
	v_add_f32_e32 v47, v27, v28
	v_add_f32_e32 v27, v33, v35
	s_waitcnt lgkmcnt(0)
	v_fma_f32 v11, -0.5, v10, v0
	v_fma_f32 v28, -0.5, v27, v0
	v_add_f32_e32 v0, v33, v0
	v_sub_f32_e32 v10, v41, v36
	v_sub_f32_e32 v12, v42, v5
	;; [unrolled: 1-line block ×4, first 2 shown]
	v_add_f32_e32 v0, v34, v0
	v_add_f32_e32 v44, v10, v12
	;; [unrolled: 1-line block ×6, first 2 shown]
	v_fma_f32 v10, -0.5, v10, v26
	v_sub_f32_e32 v46, v34, v37
	v_fma_f32 v27, -0.5, v27, v26
	v_add_f32_e32 v34, v35, v0
	v_add_f32_e32 v0, v26, v41
	v_lshrrev_b32_e32 v26, 1, v40
	v_mul_hi_u32 v26, v26, s0
	v_add_f32_e32 v0, v0, v36
	v_add_f32_e32 v0, v0, v5
	v_sub_f32_e32 v45, v33, v35
	v_add_f32_e32 v33, v42, v0
	v_lshrrev_b32_e32 v0, 7, v26
	v_mul_u32_u24_e32 v0, 0x17a, v0
	v_sub_f32_e32 v39, v36, v5
	v_sub_u32_e32 v5, v40, v0
	v_mad_u64_u32 v[35:36], s[4:5], s2, v5, 0
	v_sub_f32_e32 v43, v41, v42
	v_mov_b32_e32 v13, v11
	v_fmac_f32_e32 v13, 0x3f737871, v43
	v_fmac_f32_e32 v11, 0xbf737871, v43
	;; [unrolled: 1-line block ×4, first 2 shown]
	v_mov_b32_e32 v0, v36
	v_fmac_f32_e32 v13, 0x3e9e377a, v38
	v_fmac_f32_e32 v11, 0x3e9e377a, v38
	v_mad_u64_u32 v[36:37], s[4:5], s3, v5, v[0:1]
	v_mov_b32_e32 v0, s11
	v_add_co_u32_e32 v26, vcc, s10, v14
	v_add_u32_e32 v38, 0x17a, v5
	v_addc_co_u32_e32 v37, vcc, v0, v15, vcc
	v_mad_u64_u32 v[14:15], s[4:5], s2, v38, 0
	v_lshlrev_b64 v[0:1], 3, v[1:2]
	v_mov_b32_e32 v32, v28
	v_fmac_f32_e32 v3, 0x3e9e377a, v63
	v_fmac_f32_e32 v32, 0x3f737871, v39
	;; [unrolled: 1-line block ×3, first 2 shown]
	v_add_co_u32_e32 v39, vcc, v26, v0
	v_mov_b32_e32 v2, v15
	v_addc_co_u32_e32 v37, vcc, v37, v1, vcc
	v_lshlrev_b64 v[0:1], 3, v[35:36]
	v_mad_u64_u32 v[35:36], s[4:5], s3, v38, v[2:3]
	v_add_co_u32_e32 v0, vcc, v39, v0
	v_addc_co_u32_e32 v1, vcc, v37, v1, vcc
	v_mov_b32_e32 v15, v35
	v_add_u32_e32 v26, 0x2f4, v5
	global_store_dwordx2 v[0:1], v[33:34], off
	v_lshlrev_b64 v[0:1], 3, v[14:15]
	v_mad_u64_u32 v[14:15], s[4:5], s2, v26, 0
	v_mov_b32_e32 v12, v10
	v_fmac_f32_e32 v10, 0x3f737871, v45
	v_mov_b32_e32 v2, v15
	v_mad_u64_u32 v[33:34], s[4:5], s3, v26, v[2:3]
	v_add_u32_e32 v26, 0x46e, v5
	v_mad_u64_u32 v[34:35], s[4:5], s2, v26, 0
	v_fmac_f32_e32 v10, 0x3f167918, v46
	v_add_co_u32_e32 v0, vcc, v39, v0
	v_fmac_f32_e32 v10, 0x3e9e377a, v44
	v_addc_co_u32_e32 v1, vcc, v37, v1, vcc
	v_mov_b32_e32 v2, v35
	global_store_dwordx2 v[0:1], v[10:11], off
	v_mad_u64_u32 v[10:11], s[4:5], s3, v26, v[2:3]
	v_add_u32_e32 v5, 0x5e8, v5
	v_mov_b32_e32 v15, v33
	v_mov_b32_e32 v35, v10
	v_mad_u64_u32 v[10:11], s[4:5], s2, v5, 0
	v_mov_b32_e32 v31, v27
	v_lshlrev_b64 v[0:1], 3, v[14:15]
	v_mov_b32_e32 v2, v11
	v_fmac_f32_e32 v31, 0xbf737871, v46
	v_mad_u64_u32 v[14:15], s[4:5], s3, v5, v[2:3]
	v_add_u32_e32 v2, 0x7e, v40
	v_fmac_f32_e32 v32, 0xbf167918, v43
	v_fmac_f32_e32 v31, 0x3f167918, v45
	v_add_co_u32_e32 v0, vcc, v39, v0
	v_lshrrev_b32_e32 v5, 1, v2
	v_fmac_f32_e32 v32, 0x3e9e377a, v47
	v_fmac_f32_e32 v31, 0x3e9e377a, v48
	v_addc_co_u32_e32 v1, vcc, v37, v1, vcc
	v_mul_hi_u32 v5, v5, s0
	global_store_dwordx2 v[0:1], v[31:32], off
	v_lshlrev_b64 v[0:1], 3, v[34:35]
	v_fmac_f32_e32 v27, 0x3f737871, v46
	v_fmac_f32_e32 v28, 0x3f167918, v43
	;; [unrolled: 1-line block ×3, first 2 shown]
	v_add_co_u32_e32 v0, vcc, v39, v0
	v_fmac_f32_e32 v28, 0x3e9e377a, v47
	v_fmac_f32_e32 v27, 0x3e9e377a, v48
	v_addc_co_u32_e32 v1, vcc, v37, v1, vcc
	v_mov_b32_e32 v11, v14
	v_lshrrev_b32_e32 v5, 7, v5
	global_store_dwordx2 v[0:1], v[27:28], off
	v_lshlrev_b64 v[0:1], 3, v[10:11]
	v_mul_u32_u24_e32 v10, 0x17a, v5
	v_sub_u32_e32 v2, v2, v10
	v_mad_u32_u24 v28, v5, s6, v2
	v_mad_u64_u32 v[10:11], s[4:5], s2, v28, 0
	v_add_u32_e32 v5, 0x17a, v28
	v_mad_u64_u32 v[26:27], s[4:5], s2, v5, 0
	v_mov_b32_e32 v2, v11
	v_mad_u64_u32 v[14:15], s[4:5], s3, v28, v[2:3]
	v_fmac_f32_e32 v12, 0xbf737871, v45
	v_fmac_f32_e32 v12, 0xbf167918, v46
	v_add_co_u32_e32 v0, vcc, v39, v0
	v_fmac_f32_e32 v12, 0x3e9e377a, v44
	v_addc_co_u32_e32 v1, vcc, v37, v1, vcc
	v_mov_b32_e32 v11, v14
	v_mov_b32_e32 v2, v27
	global_store_dwordx2 v[0:1], v[12:13], off
	v_lshlrev_b64 v[0:1], 3, v[10:11]
	v_mad_u64_u32 v[10:11], s[4:5], s3, v5, v[2:3]
	v_add_u32_e32 v5, 0x2f4, v28
	v_add_co_u32_e32 v0, vcc, v39, v0
	v_mov_b32_e32 v27, v10
	v_mad_u64_u32 v[10:11], s[4:5], s2, v5, 0
	v_addc_co_u32_e32 v1, vcc, v37, v1, vcc
	v_mov_b32_e32 v2, v11
	v_mad_u64_u32 v[11:12], s[4:5], s3, v5, v[2:3]
	v_add_u32_e32 v5, 0x46e, v28
	v_mad_u64_u32 v[12:13], s[4:5], s2, v5, 0
	global_store_dwordx2 v[0:1], v[29:30], off
	v_lshlrev_b64 v[0:1], 3, v[26:27]
	v_fmac_f32_e32 v7, 0x3e9e377a, v59
	v_add_co_u32_e32 v0, vcc, v39, v0
	v_addc_co_u32_e32 v1, vcc, v37, v1, vcc
	v_mov_b32_e32 v2, v13
	global_store_dwordx2 v[0:1], v[6:7], off
	v_mad_u64_u32 v[5:6], s[4:5], s3, v5, v[2:3]
	v_lshlrev_b64 v[0:1], 3, v[10:11]
	v_add_u32_e32 v7, 0x5e8, v28
	v_add_u32_e32 v10, 0xfc, v40
	v_mov_b32_e32 v13, v5
	v_mad_u64_u32 v[5:6], s[4:5], s2, v7, 0
	v_lshrrev_b32_e32 v2, 1, v10
	v_mul_hi_u32 v11, v2, s0
	v_mov_b32_e32 v2, v6
	v_mad_u64_u32 v[6:7], s[0:1], s3, v7, v[2:3]
	v_lshrrev_b32_e32 v2, 7, v11
	v_add_co_u32_e32 v0, vcc, v39, v0
	v_mul_u32_u24_e32 v7, 0x17a, v2
	v_fmac_f32_e32 v23, 0x3e9e377a, v49
	v_fmac_f32_e32 v22, 0x3e9e377a, v51
	v_addc_co_u32_e32 v1, vcc, v37, v1, vcc
	v_sub_u32_e32 v7, v10, v7
	global_store_dwordx2 v[0:1], v[22:23], off
	v_lshlrev_b64 v[0:1], 3, v[12:13]
	v_mad_u32_u24 v12, v2, s6, v7
	v_mad_u64_u32 v[10:11], s[0:1], s2, v12, 0
	v_add_co_u32_e32 v0, vcc, v39, v0
	v_fmac_f32_e32 v25, 0x3e9e377a, v49
	v_fmac_f32_e32 v24, 0x3e9e377a, v51
	v_addc_co_u32_e32 v1, vcc, v37, v1, vcc
	v_mov_b32_e32 v2, v11
	global_store_dwordx2 v[0:1], v[24:25], off
	v_lshlrev_b64 v[0:1], 3, v[5:6]
	v_mad_u64_u32 v[5:6], s[0:1], s3, v12, v[2:3]
	v_add_u32_e32 v7, 0x17a, v12
	v_add_co_u32_e32 v0, vcc, v39, v0
	v_mov_b32_e32 v11, v5
	v_mad_u64_u32 v[5:6], s[0:1], s2, v7, 0
	v_fmac_f32_e32 v21, 0x3e9e377a, v59
	v_addc_co_u32_e32 v1, vcc, v37, v1, vcc
	v_mov_b32_e32 v2, v6
	v_mad_u64_u32 v[6:7], s[0:1], s3, v7, v[2:3]
	v_add_u32_e32 v7, 0x2f4, v12
	global_store_dwordx2 v[0:1], v[20:21], off
	v_lshlrev_b64 v[0:1], 3, v[10:11]
	v_mad_u64_u32 v[10:11], s[0:1], s2, v7, 0
	v_add_co_u32_e32 v0, vcc, v39, v0
	v_addc_co_u32_e32 v1, vcc, v37, v1, vcc
	v_mov_b32_e32 v2, v11
	global_store_dwordx2 v[0:1], v[54:55], off
	v_lshlrev_b64 v[0:1], 3, v[5:6]
	v_mad_u64_u32 v[5:6], s[0:1], s3, v7, v[2:3]
	v_add_u32_e32 v7, 0x46e, v12
	v_add_co_u32_e32 v0, vcc, v39, v0
	v_mov_b32_e32 v11, v5
	v_mad_u64_u32 v[5:6], s[0:1], s2, v7, 0
	v_fmac_f32_e32 v19, 0x3e9e377a, v62
	v_fmac_f32_e32 v18, 0x3e9e377a, v63
	v_mov_b32_e32 v2, v6
	v_mad_u64_u32 v[6:7], s[0:1], s3, v7, v[2:3]
	v_addc_co_u32_e32 v1, vcc, v37, v1, vcc
	v_add_u32_e32 v7, 0x5e8, v12
	global_store_dwordx2 v[0:1], v[18:19], off
	v_lshlrev_b64 v[0:1], 3, v[10:11]
	v_mad_u64_u32 v[10:11], s[0:1], s2, v7, 0
	v_add_co_u32_e32 v0, vcc, v39, v0
	v_addc_co_u32_e32 v1, vcc, v37, v1, vcc
	v_mov_b32_e32 v2, v11
	global_store_dwordx2 v[0:1], v[16:17], off
	v_lshlrev_b64 v[0:1], 3, v[5:6]
	v_mad_u64_u32 v[5:6], s[0:1], s3, v7, v[2:3]
	v_add_co_u32_e32 v0, vcc, v39, v0
	v_addc_co_u32_e32 v1, vcc, v37, v1, vcc
	v_mov_b32_e32 v11, v5
	global_store_dwordx2 v[0:1], v[8:9], off
	v_lshlrev_b64 v[0:1], 3, v[10:11]
	v_fmac_f32_e32 v4, 0x3e9e377a, v62
	v_add_co_u32_e32 v0, vcc, v39, v0
	v_addc_co_u32_e32 v1, vcc, v37, v1, vcc
	global_store_dwordx2 v[0:1], v[3:4], off
.LBB0_29:
	s_endpgm
	.section	.rodata,"a",@progbits
	.p2align	6, 0x0
	.amdhsa_kernel fft_rtc_fwd_len1890_factors_2_3_3_3_7_5_wgs_126_tpt_126_halfLds_sp_op_CI_CI_sbrr_dirReg
		.amdhsa_group_segment_fixed_size 0
		.amdhsa_private_segment_fixed_size 0
		.amdhsa_kernarg_size 104
		.amdhsa_user_sgpr_count 6
		.amdhsa_user_sgpr_private_segment_buffer 1
		.amdhsa_user_sgpr_dispatch_ptr 0
		.amdhsa_user_sgpr_queue_ptr 0
		.amdhsa_user_sgpr_kernarg_segment_ptr 1
		.amdhsa_user_sgpr_dispatch_id 0
		.amdhsa_user_sgpr_flat_scratch_init 0
		.amdhsa_user_sgpr_private_segment_size 0
		.amdhsa_uses_dynamic_stack 0
		.amdhsa_system_sgpr_private_segment_wavefront_offset 0
		.amdhsa_system_sgpr_workgroup_id_x 1
		.amdhsa_system_sgpr_workgroup_id_y 0
		.amdhsa_system_sgpr_workgroup_id_z 0
		.amdhsa_system_sgpr_workgroup_info 0
		.amdhsa_system_vgpr_workitem_id 0
		.amdhsa_next_free_vgpr 85
		.amdhsa_next_free_sgpr 32
		.amdhsa_reserve_vcc 1
		.amdhsa_reserve_flat_scratch 0
		.amdhsa_float_round_mode_32 0
		.amdhsa_float_round_mode_16_64 0
		.amdhsa_float_denorm_mode_32 3
		.amdhsa_float_denorm_mode_16_64 3
		.amdhsa_dx10_clamp 1
		.amdhsa_ieee_mode 1
		.amdhsa_fp16_overflow 0
		.amdhsa_exception_fp_ieee_invalid_op 0
		.amdhsa_exception_fp_denorm_src 0
		.amdhsa_exception_fp_ieee_div_zero 0
		.amdhsa_exception_fp_ieee_overflow 0
		.amdhsa_exception_fp_ieee_underflow 0
		.amdhsa_exception_fp_ieee_inexact 0
		.amdhsa_exception_int_div_zero 0
	.end_amdhsa_kernel
	.text
.Lfunc_end0:
	.size	fft_rtc_fwd_len1890_factors_2_3_3_3_7_5_wgs_126_tpt_126_halfLds_sp_op_CI_CI_sbrr_dirReg, .Lfunc_end0-fft_rtc_fwd_len1890_factors_2_3_3_3_7_5_wgs_126_tpt_126_halfLds_sp_op_CI_CI_sbrr_dirReg
                                        ; -- End function
	.section	.AMDGPU.csdata,"",@progbits
; Kernel info:
; codeLenInByte = 12004
; NumSgprs: 36
; NumVgprs: 85
; ScratchSize: 0
; MemoryBound: 0
; FloatMode: 240
; IeeeMode: 1
; LDSByteSize: 0 bytes/workgroup (compile time only)
; SGPRBlocks: 4
; VGPRBlocks: 21
; NumSGPRsForWavesPerEU: 36
; NumVGPRsForWavesPerEU: 85
; Occupancy: 2
; WaveLimiterHint : 1
; COMPUTE_PGM_RSRC2:SCRATCH_EN: 0
; COMPUTE_PGM_RSRC2:USER_SGPR: 6
; COMPUTE_PGM_RSRC2:TRAP_HANDLER: 0
; COMPUTE_PGM_RSRC2:TGID_X_EN: 1
; COMPUTE_PGM_RSRC2:TGID_Y_EN: 0
; COMPUTE_PGM_RSRC2:TGID_Z_EN: 0
; COMPUTE_PGM_RSRC2:TIDIG_COMP_CNT: 0
	.type	__hip_cuid_bcb0bcbb831000f1,@object ; @__hip_cuid_bcb0bcbb831000f1
	.section	.bss,"aw",@nobits
	.globl	__hip_cuid_bcb0bcbb831000f1
__hip_cuid_bcb0bcbb831000f1:
	.byte	0                               ; 0x0
	.size	__hip_cuid_bcb0bcbb831000f1, 1

	.ident	"AMD clang version 19.0.0git (https://github.com/RadeonOpenCompute/llvm-project roc-6.4.0 25133 c7fe45cf4b819c5991fe208aaa96edf142730f1d)"
	.section	".note.GNU-stack","",@progbits
	.addrsig
	.addrsig_sym __hip_cuid_bcb0bcbb831000f1
	.amdgpu_metadata
---
amdhsa.kernels:
  - .args:
      - .actual_access:  read_only
        .address_space:  global
        .offset:         0
        .size:           8
        .value_kind:     global_buffer
      - .offset:         8
        .size:           8
        .value_kind:     by_value
      - .actual_access:  read_only
        .address_space:  global
        .offset:         16
        .size:           8
        .value_kind:     global_buffer
      - .actual_access:  read_only
        .address_space:  global
        .offset:         24
        .size:           8
        .value_kind:     global_buffer
      - .actual_access:  read_only
        .address_space:  global
        .offset:         32
        .size:           8
        .value_kind:     global_buffer
      - .offset:         40
        .size:           8
        .value_kind:     by_value
      - .actual_access:  read_only
        .address_space:  global
        .offset:         48
        .size:           8
        .value_kind:     global_buffer
      - .actual_access:  read_only
        .address_space:  global
        .offset:         56
        .size:           8
        .value_kind:     global_buffer
      - .offset:         64
        .size:           4
        .value_kind:     by_value
      - .actual_access:  read_only
        .address_space:  global
        .offset:         72
        .size:           8
        .value_kind:     global_buffer
      - .actual_access:  read_only
        .address_space:  global
        .offset:         80
        .size:           8
        .value_kind:     global_buffer
      - .actual_access:  read_only
        .address_space:  global
        .offset:         88
        .size:           8
        .value_kind:     global_buffer
      - .actual_access:  write_only
        .address_space:  global
        .offset:         96
        .size:           8
        .value_kind:     global_buffer
    .group_segment_fixed_size: 0
    .kernarg_segment_align: 8
    .kernarg_segment_size: 104
    .language:       OpenCL C
    .language_version:
      - 2
      - 0
    .max_flat_workgroup_size: 126
    .name:           fft_rtc_fwd_len1890_factors_2_3_3_3_7_5_wgs_126_tpt_126_halfLds_sp_op_CI_CI_sbrr_dirReg
    .private_segment_fixed_size: 0
    .sgpr_count:     36
    .sgpr_spill_count: 0
    .symbol:         fft_rtc_fwd_len1890_factors_2_3_3_3_7_5_wgs_126_tpt_126_halfLds_sp_op_CI_CI_sbrr_dirReg.kd
    .uniform_work_group_size: 1
    .uses_dynamic_stack: false
    .vgpr_count:     85
    .vgpr_spill_count: 0
    .wavefront_size: 64
amdhsa.target:   amdgcn-amd-amdhsa--gfx906
amdhsa.version:
  - 1
  - 2
...

	.end_amdgpu_metadata
